;; amdgpu-corpus repo=ROCm/rocFFT kind=compiled arch=gfx1030 opt=O3
	.text
	.amdgcn_target "amdgcn-amd-amdhsa--gfx1030"
	.amdhsa_code_object_version 6
	.protected	bluestein_single_fwd_len351_dim1_sp_op_CI_CI ; -- Begin function bluestein_single_fwd_len351_dim1_sp_op_CI_CI
	.globl	bluestein_single_fwd_len351_dim1_sp_op_CI_CI
	.p2align	8
	.type	bluestein_single_fwd_len351_dim1_sp_op_CI_CI,@function
bluestein_single_fwd_len351_dim1_sp_op_CI_CI: ; @bluestein_single_fwd_len351_dim1_sp_op_CI_CI
; %bb.0:
	s_load_dwordx4 s[0:3], s[4:5], 0x28
	v_mul_u32_u24_e32 v1, 0x691, v0
	v_lshrrev_b32_e32 v1, 16, v1
	v_mad_u64_u32 v[48:49], null, s6, 3, v[1:2]
	v_mov_b32_e32 v49, 0
                                        ; kill: def $vgpr2 killed $sgpr0 killed $exec
	s_waitcnt lgkmcnt(0)
	v_cmp_gt_u64_e32 vcc_lo, s[0:1], v[48:49]
	s_and_saveexec_b32 s0, vcc_lo
	s_cbranch_execz .LBB0_15
; %bb.1:
	v_mul_hi_u32 v2, 0xaaaaaaab, v48
	s_clause 0x1
	s_load_dwordx2 s[14:15], s[4:5], 0x0
	s_load_dwordx2 s[12:13], s[4:5], 0x38
	v_mul_lo_u16 v1, v1, 39
	v_sub_nc_u16 v0, v0, v1
	v_lshrrev_b32_e32 v2, 1, v2
	v_and_b32_e32 v61, 0xffff, v0
	v_lshl_add_u32 v2, v2, 1, v2
	v_cmp_gt_u16_e32 vcc_lo, 27, v0
	v_lshlrev_b32_e32 v62, 3, v61
	v_sub_nc_u32_e32 v1, v48, v2
	v_mul_u32_u24_e32 v30, 0x15f, v1
	v_lshlrev_b32_e32 v63, 3, v30
	s_and_saveexec_b32 s1, vcc_lo
	s_cbranch_execz .LBB0_3
; %bb.2:
	s_load_dwordx2 s[6:7], s[4:5], 0x18
	s_waitcnt lgkmcnt(0)
	v_add_co_u32 v24, s0, s14, v62
	v_add_co_ci_u32_e64 v25, null, s15, 0, s0
	v_add_nc_u32_e32 v47, v63, v62
	v_lshl_add_u32 v57, v61, 3, v63
	s_load_dwordx4 s[8:11], s[6:7], 0x0
	s_waitcnt lgkmcnt(0)
	v_mad_u64_u32 v[0:1], null, s10, v48, 0
	v_mad_u64_u32 v[2:3], null, s8, v61, 0
	s_mul_i32 s6, s9, 0xd8
	s_mul_hi_u32 s7, s8, 0xd8
	s_add_i32 s7, s7, s6
	v_mad_u64_u32 v[4:5], null, s11, v48, v[1:2]
	v_mad_u64_u32 v[5:6], null, s9, v61, v[3:4]
	v_mov_b32_e32 v1, v4
	s_clause 0x7
	global_load_dwordx2 v[6:7], v62, s[14:15]
	global_load_dwordx2 v[8:9], v62, s[14:15] offset:216
	global_load_dwordx2 v[10:11], v62, s[14:15] offset:432
	;; [unrolled: 1-line block ×7, first 2 shown]
	v_lshlrev_b64 v[0:1], 3, v[0:1]
	v_mov_b32_e32 v3, v5
	s_clause 0x1
	global_load_dwordx2 v[4:5], v62, s[14:15] offset:1728
	global_load_dwordx2 v[22:23], v62, s[14:15] offset:1944
	v_add_co_u32 v0, s0, s2, v0
	v_lshlrev_b64 v[2:3], 3, v[2:3]
	v_add_co_ci_u32_e64 v1, s0, s3, v1, s0
	s_mul_i32 s2, s8, 0xd8
	v_add_co_u32 v0, s0, v0, v2
	v_add_co_ci_u32_e64 v1, s0, v1, v3, s0
	v_add_co_u32 v2, s0, v0, s2
	v_add_co_ci_u32_e64 v3, s0, s7, v1, s0
	;; [unrolled: 2-line block ×4, first 2 shown]
	global_load_dwordx2 v[0:1], v[0:1], off
	v_add_co_u32 v31, s0, v26, s2
	v_add_co_ci_u32_e64 v32, s0, s7, v27, s0
	global_load_dwordx2 v[28:29], v[24:25], off offset:112
	v_add_co_u32 v33, s0, v31, s2
	v_add_co_ci_u32_e64 v34, s0, s7, v32, s0
	s_clause 0x2
	global_load_dwordx2 v[2:3], v[2:3], off
	global_load_dwordx2 v[26:27], v[26:27], off
	global_load_dwordx2 v[31:32], v[31:32], off
	v_add_co_u32 v35, s0, v33, s2
	v_add_co_ci_u32_e64 v36, s0, s7, v34, s0
	global_load_dwordx2 v[33:34], v[33:34], off
	v_add_co_u32 v37, s0, v35, s2
	v_add_co_ci_u32_e64 v38, s0, s7, v36, s0
	global_load_dwordx2 v[35:36], v[35:36], off
	;; [unrolled: 3-line block ×8, first 2 shown]
	s_clause 0x1
	global_load_dwordx2 v[53:54], v[24:25], off offset:328
	global_load_dwordx2 v[24:25], v[24:25], off offset:544
	global_load_dwordx2 v[51:52], v[51:52], off
	s_waitcnt vmcnt(15)
	v_mul_f32_e32 v55, v1, v7
	v_mul_f32_e32 v56, v0, v7
	v_fmac_f32_e32 v55, v0, v6
	v_fma_f32 v56, v1, v6, -v56
	s_waitcnt vmcnt(13)
	v_mul_f32_e32 v0, v3, v9
	v_mul_f32_e32 v9, v2, v9
	s_waitcnt vmcnt(12)
	v_mul_f32_e32 v7, v27, v11
	v_mul_f32_e32 v11, v26, v11
	ds_write_b64 v57, v[55:56]
	v_fmac_f32_e32 v0, v2, v8
	v_fma_f32 v1, v3, v8, -v9
	v_fmac_f32_e32 v7, v26, v10
	v_fma_f32 v8, v27, v10, -v11
	s_waitcnt vmcnt(11)
	v_mul_f32_e32 v2, v32, v13
	v_mul_f32_e32 v3, v31, v13
	v_add_nc_u32_e32 v26, 0x400, v47
	s_waitcnt vmcnt(9)
	v_mul_f32_e32 v6, v36, v17
	ds_write2_b64 v47, v[0:1], v[7:8] offset0:27 offset1:54
	v_mul_f32_e32 v0, v34, v15
	v_mul_f32_e32 v1, v33, v15
	v_fmac_f32_e32 v2, v31, v12
	v_fma_f32 v3, v32, v12, -v3
	v_mul_f32_e32 v7, v35, v17
	s_waitcnt vmcnt(8)
	v_mul_f32_e32 v8, v38, v19
	v_mul_f32_e32 v9, v37, v19
	v_fmac_f32_e32 v0, v33, v14
	s_waitcnt vmcnt(7)
	v_mul_f32_e32 v10, v40, v21
	v_mul_f32_e32 v11, v39, v21
	v_fma_f32 v1, v34, v14, -v1
	v_fmac_f32_e32 v6, v35, v16
	v_fma_f32 v7, v36, v16, -v7
	s_waitcnt vmcnt(6)
	v_mul_f32_e32 v12, v42, v5
	v_mul_f32_e32 v5, v41, v5
	v_fmac_f32_e32 v8, v37, v18
	v_fma_f32 v9, v38, v18, -v9
	v_fmac_f32_e32 v10, v39, v20
	s_waitcnt vmcnt(5)
	v_mul_f32_e32 v14, v44, v23
	v_mul_f32_e32 v15, v43, v23
	v_fma_f32 v13, v42, v4, -v5
	v_fma_f32 v11, v40, v20, -v11
	v_fmac_f32_e32 v12, v41, v4
	s_waitcnt vmcnt(4)
	v_mul_f32_e32 v16, v46, v29
	v_mul_f32_e32 v5, v45, v29
	v_fmac_f32_e32 v14, v43, v22
	s_waitcnt vmcnt(2)
	v_mul_f32_e32 v4, v50, v54
	v_mul_f32_e32 v19, v49, v54
	s_waitcnt vmcnt(0)
	v_mul_f32_e32 v18, v52, v25
	v_mul_f32_e32 v20, v51, v25
	v_fma_f32 v15, v44, v22, -v15
	v_fmac_f32_e32 v16, v45, v28
	v_fma_f32 v17, v46, v28, -v5
	v_fmac_f32_e32 v4, v49, v53
	;; [unrolled: 2-line block ×3, first 2 shown]
	v_fma_f32 v19, v52, v24, -v20
	v_add_nc_u32_e32 v20, 0x800, v47
	ds_write2_b64 v47, v[2:3], v[0:1] offset0:81 offset1:108
	ds_write2_b64 v47, v[6:7], v[8:9] offset0:135 offset1:162
	;; [unrolled: 1-line block ×5, first 2 shown]
.LBB0_3:
	s_or_b32 exec_lo, exec_lo, s1
	s_clause 0x1
	s_load_dwordx2 s[2:3], s[4:5], 0x20
	s_load_dwordx2 s[0:1], s[4:5], 0x8
	v_mov_b32_e32 v4, 0
	v_mov_b32_e32 v5, 0
	s_waitcnt lgkmcnt(0)
	s_barrier
	buffer_gl0_inv
                                        ; implicit-def: $vgpr18
                                        ; implicit-def: $vgpr12
                                        ; implicit-def: $vgpr8
                                        ; implicit-def: $vgpr28
                                        ; implicit-def: $vgpr22
                                        ; implicit-def: $vgpr26
	s_and_saveexec_b32 s4, vcc_lo
	s_cbranch_execz .LBB0_5
; %bb.4:
	v_lshl_add_u32 v0, v30, 3, v62
	v_add_nc_u32_e32 v1, 0x800, v0
	ds_read2_b64 v[4:7], v0 offset1:27
	ds_read2_b64 v[24:27], v0 offset0:54 offset1:81
	ds_read2_b64 v[20:23], v0 offset0:108 offset1:135
	;; [unrolled: 1-line block ×5, first 2 shown]
	ds_read_b64 v[28:29], v0 offset:2592
.LBB0_5:
	s_or_b32 exec_lo, exec_lo, s4
	s_waitcnt lgkmcnt(0)
	v_sub_f32_e32 v68, v7, v29
	v_sub_f32_e32 v72, v6, v28
	v_add_f32_e32 v31, v28, v6
	v_sub_f32_e32 v71, v25, v11
	v_add_f32_e32 v32, v29, v7
	v_mul_f32_e32 v39, 0xbeedf032, v68
	v_mul_f32_e32 v44, 0xbeedf032, v72
	v_add_f32_e32 v33, v10, v24
	v_sub_f32_e32 v73, v24, v10
	v_mul_f32_e32 v40, 0xbf52af12, v71
	v_fmamk_f32 v0, v31, 0x3f62ad3f, v39
	v_sub_f32_e32 v79, v27, v9
	v_fma_f32 v1, 0x3f62ad3f, v32, -v44
	v_add_f32_e32 v34, v11, v25
	v_mul_f32_e32 v45, 0xbf52af12, v73
	v_add_f32_e32 v0, v0, v4
	v_fmamk_f32 v2, v33, 0x3f116cb1, v40
	v_sub_f32_e32 v80, v26, v8
	v_add_f32_e32 v35, v8, v26
	v_mul_f32_e32 v43, 0xbf7e222b, v79
	v_sub_f32_e32 v82, v21, v15
	v_add_f32_e32 v1, v1, v5
	v_fma_f32 v3, 0x3f116cb1, v34, -v45
	v_add_f32_e32 v0, v2, v0
	v_add_f32_e32 v36, v9, v27
	v_mul_f32_e32 v54, 0xbf7e222b, v80
	v_fmamk_f32 v2, v35, 0x3df6dbef, v43
	v_sub_f32_e32 v83, v20, v14
	v_add_f32_e32 v37, v14, v20
	v_mul_f32_e32 v53, 0xbf6f5d39, v82
	v_sub_f32_e32 v84, v23, v13
	v_add_f32_e32 v1, v3, v1
	v_fma_f32 v3, 0x3df6dbef, v36, -v54
	v_add_f32_e32 v38, v15, v21
	v_mul_f32_e32 v55, 0xbf6f5d39, v83
	v_add_f32_e32 v0, v2, v0
	v_fmamk_f32 v2, v37, 0xbeb58ec6, v53
	v_sub_f32_e32 v86, v22, v12
	v_add_f32_e32 v41, v12, v22
	v_mul_f32_e32 v56, 0xbf29c268, v84
	v_add_f32_e32 v1, v3, v1
	v_fma_f32 v3, 0xbeb58ec6, v38, -v55
	v_add_f32_e32 v42, v13, v23
	v_mul_f32_e32 v57, 0xbf29c268, v86
	v_add_f32_e32 v0, v2, v0
	v_fmamk_f32 v2, v41, 0xbf3f9e67, v56
	v_mul_f32_e32 v66, 0xbf52af12, v68
	v_add_f32_e32 v1, v3, v1
	v_fma_f32 v3, 0xbf3f9e67, v42, -v57
	v_mul_f32_e32 v67, 0xbf6f5d39, v71
	v_add_f32_e32 v0, v2, v0
	v_fmamk_f32 v2, v31, 0x3f116cb1, v66
	v_mul_f32_e32 v75, 0xbf52af12, v72
	v_add_f32_e32 v1, v3, v1
	v_sub_f32_e32 v93, v17, v19
	v_fmamk_f32 v3, v33, 0xbeb58ec6, v67
	v_add_f32_e32 v2, v2, v4
	v_fma_f32 v49, 0x3f116cb1, v32, -v75
	v_mul_f32_e32 v76, 0xbf6f5d39, v73
	v_mul_f32_e32 v70, 0xbe750f2a, v79
	v_sub_f32_e32 v98, v16, v18
	v_add_f32_e32 v46, v18, v16
	v_mul_f32_e32 v58, 0xbe750f2a, v93
	v_add_f32_e32 v2, v3, v2
	v_add_f32_e32 v3, v49, v5
	v_fma_f32 v49, 0xbeb58ec6, v34, -v76
	v_fmamk_f32 v51, v35, 0xbf788fa5, v70
	v_mul_f32_e32 v78, 0xbe750f2a, v80
	v_mul_f32_e32 v69, 0x3f29c268, v82
	v_add_f32_e32 v47, v19, v17
	v_mul_f32_e32 v59, 0xbe750f2a, v98
	v_fmamk_f32 v50, v46, 0xbf788fa5, v58
	v_add_f32_e32 v3, v49, v3
	v_add_f32_e32 v49, v51, v2
	v_fma_f32 v51, 0xbf788fa5, v36, -v78
	v_fmamk_f32 v64, v37, 0xbf3f9e67, v69
	v_mul_f32_e32 v74, 0x3f29c268, v83
	v_mul_f32_e32 v60, 0x3f7e222b, v84
	v_fma_f32 v52, 0xbf788fa5, v47, -v59
	v_add_f32_e32 v2, v50, v0
	v_add_f32_e32 v0, v51, v3
	;; [unrolled: 1-line block ×3, first 2 shown]
	v_fma_f32 v50, 0xbf3f9e67, v38, -v74
	v_fmamk_f32 v51, v41, 0x3df6dbef, v60
	v_mul_f32_e32 v77, 0x3f7e222b, v86
	v_mul_f32_e32 v85, 0xbf7e222b, v68
	v_add_f32_e32 v3, v52, v1
	v_add_f32_e32 v0, v50, v0
	;; [unrolled: 1-line block ×3, first 2 shown]
	v_fma_f32 v49, 0x3df6dbef, v42, -v77
	v_mul_f32_e32 v65, 0x3eedf032, v93
	v_fmamk_f32 v50, v31, 0x3df6dbef, v85
	v_mul_f32_e32 v87, 0xbe750f2a, v71
	v_mul_f32_e32 v95, 0xbf7e222b, v72
	v_add_f32_e32 v49, v49, v0
	v_fmamk_f32 v0, v46, 0x3f62ad3f, v65
	v_add_f32_e32 v50, v50, v4
	v_fmamk_f32 v51, v33, 0xbf788fa5, v87
	v_fma_f32 v52, 0x3df6dbef, v32, -v95
	v_mul_f32_e32 v96, 0xbe750f2a, v73
	v_mul_f32_e32 v88, 0x3f6f5d39, v79
	v_add_f32_e32 v0, v0, v1
	v_add_f32_e32 v1, v51, v50
	v_add_f32_e32 v50, v52, v5
	v_fma_f32 v51, 0xbf788fa5, v34, -v96
	v_fmamk_f32 v52, v35, 0xbeb58ec6, v88
	v_mul_f32_e32 v91, 0x3f6f5d39, v80
	v_mul_f32_e32 v90, 0x3eedf032, v82
	;; [unrolled: 1-line block ×3, first 2 shown]
	v_add_f32_e32 v50, v51, v50
	v_add_f32_e32 v1, v52, v1
	v_fma_f32 v51, 0xbeb58ec6, v36, -v91
	v_fmamk_f32 v52, v37, 0x3f62ad3f, v90
	v_mul_f32_e32 v89, 0xbf52af12, v84
	v_mul_f32_e32 v94, 0xbf52af12, v86
	;; [unrolled: 1-line block ×3, first 2 shown]
	v_add_f32_e32 v50, v51, v50
	v_fma_f32 v51, 0x3f62ad3f, v38, -v92
	v_add_f32_e32 v1, v52, v1
	v_fmamk_f32 v52, v41, 0x3f116cb1, v89
	v_mul_f32_e32 v109, 0xbf6f5d39, v72
	v_mul_f32_e32 v101, 0x3f29c268, v71
	v_add_f32_e32 v50, v51, v50
	v_mul_f32_e32 v106, 0x3f29c268, v73
	v_add_f32_e32 v51, v52, v1
	v_fma_f32 v1, 0x3f116cb1, v42, -v94
	v_fmamk_f32 v52, v31, 0xbeb58ec6, v100
	v_fma_f32 v97, 0xbeb58ec6, v32, -v109
	v_fma_f32 v103, 0xbf3f9e67, v34, -v106
	v_mul_f32_e32 v102, 0x3eedf032, v79
	v_add_f32_e32 v50, v1, v50
	v_add_f32_e32 v1, v52, v4
	v_fmamk_f32 v52, v33, 0xbf3f9e67, v101
	v_add_f32_e32 v99, v97, v5
	v_mul_f32_e32 v107, 0x3eedf032, v80
	v_mul_f32_e32 v108, 0xbf7e222b, v83
	v_mul_f32_e32 v105, 0x3e750f2a, v84
	v_add_f32_e32 v1, v52, v1
	v_add_f32_e32 v52, v103, v99
	v_fmamk_f32 v99, v35, 0x3f62ad3f, v102
	v_fma_f32 v104, 0x3f62ad3f, v36, -v107
	v_mul_f32_e32 v103, 0xbf7e222b, v82
	v_fma_f32 v111, 0x3df6dbef, v38, -v108
	v_mul_f32_e32 v110, 0x3e750f2a, v86
	v_add_f32_e32 v1, v99, v1
	v_add_f32_e32 v52, v104, v52
	v_fmamk_f32 v104, v37, 0x3df6dbef, v103
	v_mul_f32_e32 v81, 0x3eedf032, v98
	v_mul_f32_e32 v97, 0xbf29c268, v93
	;; [unrolled: 1-line block ×3, first 2 shown]
	v_add_f32_e32 v52, v111, v52
	v_add_f32_e32 v1, v104, v1
	v_fmamk_f32 v113, v41, 0xbf788fa5, v105
	v_fma_f32 v114, 0xbf788fa5, v42, -v110
	v_mul_f32_e32 v104, 0x3f52af12, v93
	v_mul_f32_e32 v111, 0x3f52af12, v98
	v_fma_f32 v64, 0x3f62ad3f, v47, -v81
	v_fmamk_f32 v112, v46, 0xbf3f9e67, v97
	v_fma_f32 v115, 0xbf3f9e67, v47, -v99
	v_add_f32_e32 v113, v113, v1
	v_add_f32_e32 v52, v114, v52
	v_fmamk_f32 v114, v46, 0x3f116cb1, v104
	v_fma_f32 v116, 0x3f116cb1, v47, -v111
	v_add_f32_e32 v1, v64, v49
	v_add_f32_e32 v49, v112, v51
	v_add_f32_e32 v50, v115, v50
	v_add_f32_e32 v51, v114, v113
	v_add_f32_e32 v52, v116, v52
	v_mul_lo_u16 v64, v61, 13
	s_barrier
	buffer_gl0_inv
	s_and_saveexec_b32 s4, vcc_lo
	s_cbranch_execz .LBB0_7
; %bb.6:
	v_mul_f32_e32 v112, 0xbe750f2a, v72
	v_mul_f32_e32 v114, 0xbe750f2a, v68
	;; [unrolled: 1-line block ×5, first 2 shown]
	v_fmamk_f32 v117, v32, 0xbf788fa5, v112
	v_fma_f32 v120, 0xbf788fa5, v31, -v114
	v_mul_f32_e32 v119, 0xbf29c268, v79
	v_fmamk_f32 v121, v34, 0x3f62ad3f, v113
	v_fma_f32 v123, 0x3f62ad3f, v33, -v118
	v_add_f32_e32 v117, v117, v5
	v_add_f32_e32 v120, v120, v4
	v_mul_f32_e32 v116, 0x3f52af12, v83
	v_mul_f32_e32 v122, 0x3f52af12, v82
	v_fmamk_f32 v124, v36, 0xbf3f9e67, v115
	v_add_f32_e32 v117, v121, v117
	v_fma_f32 v125, 0xbf3f9e67, v35, -v119
	v_add_f32_e32 v120, v123, v120
	v_mul_f32_e32 v121, 0xbf6f5d39, v86
	v_fmamk_f32 v123, v38, 0x3f116cb1, v116
	v_add_f32_e32 v117, v124, v117
	v_mul_f32_e32 v124, 0xbf6f5d39, v84
	v_fma_f32 v126, 0x3f116cb1, v37, -v122
	v_add_f32_e32 v120, v125, v120
	v_fmamk_f32 v125, v42, 0xbeb58ec6, v121
	v_add_f32_e32 v117, v123, v117
	v_fma_f32 v123, 0xbeb58ec6, v41, -v124
	v_mul_f32_e32 v127, 0xbf29c268, v72
	v_add_f32_e32 v120, v126, v120
	v_mul_f32_e32 v68, 0xbf29c268, v68
	v_add_f32_e32 v72, v125, v117
	v_mul_f32_e32 v73, 0x3f7e222b, v73
	v_mul_f32_e32 v129, 0x3f7e222b, v71
	v_add_f32_e32 v117, v123, v120
	v_fmamk_f32 v123, v32, 0xbf3f9e67, v127
	v_fma_f32 v128, 0xbf3f9e67, v31, -v68
	v_mul_f32_e32 v130, 0xbf52af12, v80
	v_mul_f32_e32 v131, 0xbf52af12, v79
	;; [unrolled: 1-line block ×3, first 2 shown]
	v_add_f32_e32 v71, v123, v5
	v_fmamk_f32 v123, v34, 0x3df6dbef, v73
	v_add_f32_e32 v80, v128, v4
	v_fma_f32 v128, 0x3df6dbef, v33, -v129
	v_fmamk_f32 v79, v36, 0x3f116cb1, v130
	v_mul_f32_e32 v86, 0x3eedf032, v86
	v_add_f32_e32 v71, v123, v71
	v_mul_f32_e32 v123, 0x3e750f2a, v83
	v_add_f32_e32 v80, v128, v80
	v_fma_f32 v83, 0x3f116cb1, v35, -v131
	v_mul_f32_e32 v128, 0x3e750f2a, v82
	v_add_f32_e32 v71, v79, v71
	v_fmamk_f32 v79, v38, 0xbf788fa5, v123
	v_mul_f32_e32 v84, 0x3eedf032, v84
	v_add_f32_e32 v80, v83, v80
	v_fma_f32 v82, 0xbf788fa5, v37, -v128
	v_mul_f32_e32 v126, 0x3f7e222b, v98
	v_fma_f32 v83, 0x3df6dbef, v46, -v125
	v_add_f32_e32 v79, v79, v71
	v_fmamk_f32 v132, v42, 0x3f62ad3f, v86
	v_add_f32_e32 v80, v82, v80
	v_fma_f32 v82, 0x3f62ad3f, v41, -v84
	v_mul_f32_e32 v98, 0xbf6f5d39, v98
	v_fmamk_f32 v120, v47, 0x3df6dbef, v126
	v_add_f32_e32 v71, v83, v117
	v_add_f32_e32 v79, v132, v79
	;; [unrolled: 1-line block ×3, first 2 shown]
	v_mul_f32_e32 v80, 0xbeb58ec6, v32
	v_fmamk_f32 v83, v47, 0xbeb58ec6, v98
	v_mul_f32_e32 v117, 0xbeb58ec6, v31
	v_add_f32_e32 v72, v120, v72
	v_mul_f32_e32 v120, 0xbf3f9e67, v34
	v_add_f32_e32 v109, v109, v80
	v_add_f32_e32 v80, v83, v79
	v_mul_f32_e32 v79, 0xbf3f9e67, v33
	v_sub_f32_e32 v83, v117, v100
	v_mul_f32_e32 v93, 0xbf6f5d39, v93
	v_add_f32_e32 v100, v106, v120
	v_add_f32_e32 v106, v109, v5
	v_mul_f32_e32 v109, 0x3f62ad3f, v36
	v_sub_f32_e32 v79, v79, v101
	v_add_f32_e32 v83, v83, v4
	v_mul_f32_e32 v117, 0x3f62ad3f, v35
	v_fma_f32 v101, 0xbeb58ec6, v46, -v93
	v_add_f32_e32 v100, v100, v106
	v_add_f32_e32 v106, v107, v109
	;; [unrolled: 1-line block ×3, first 2 shown]
	v_mul_f32_e32 v107, 0x3df6dbef, v38
	v_sub_f32_e32 v102, v117, v102
	v_add_f32_e32 v79, v101, v82
	v_mul_f32_e32 v82, 0x3df6dbef, v37
	v_add_f32_e32 v100, v106, v100
	v_add_f32_e32 v101, v108, v107
	;; [unrolled: 1-line block ×3, first 2 shown]
	v_mul_f32_e32 v102, 0xbf788fa5, v42
	v_sub_f32_e32 v82, v82, v103
	v_mul_f32_e32 v107, 0x3f116cb1, v46
	v_add_f32_e32 v100, v101, v100
	v_mul_f32_e32 v101, 0xbf788fa5, v41
	v_add_f32_e32 v102, v110, v102
	v_add_f32_e32 v82, v82, v83
	v_sub_f32_e32 v104, v107, v104
	v_mul_f32_e32 v107, 0x3df6dbef, v31
	v_sub_f32_e32 v101, v101, v105
	v_add_f32_e32 v100, v102, v100
	v_mul_f32_e32 v102, 0x3df6dbef, v32
	v_mul_f32_e32 v105, 0x3f116cb1, v31
	v_sub_f32_e32 v85, v107, v85
	v_add_f32_e32 v82, v101, v82
	v_mul_f32_e32 v101, 0xbf788fa5, v34
	v_add_f32_e32 v95, v95, v102
	v_mul_f32_e32 v102, 0x3f116cb1, v32
	v_add_f32_e32 v85, v85, v4
	v_add_f32_e32 v82, v104, v82
	;; [unrolled: 1-line block ×4, first 2 shown]
	v_mul_f32_e32 v104, 0xbeb58ec6, v36
	v_add_f32_e32 v75, v75, v102
	v_mul_f32_e32 v107, 0xbeb58ec6, v33
	v_sub_f32_e32 v66, v105, v66
	v_add_f32_e32 v95, v96, v95
	v_mul_f32_e32 v96, 0xbf788fa5, v33
	v_add_f32_e32 v91, v91, v104
	v_mul_f32_e32 v104, 0x3f62ad3f, v38
	v_add_f32_e32 v75, v75, v5
	v_add_f32_e32 v66, v66, v4
	v_sub_f32_e32 v87, v96, v87
	v_add_f32_e32 v91, v91, v95
	v_mul_f32_e32 v95, 0xbeb58ec6, v35
	v_add_f32_e32 v92, v92, v104
	v_mul_f32_e32 v96, 0xbeb58ec6, v34
	;; [unrolled: 2-line block ×3, first 2 shown]
	v_sub_f32_e32 v88, v95, v88
	v_mul_f32_e32 v95, 0x3f62ad3f, v37
	v_add_f32_e32 v91, v92, v91
	v_add_f32_e32 v76, v76, v96
	v_add_f32_e32 v87, v94, v87
	v_add_f32_e32 v85, v88, v85
	v_sub_f32_e32 v88, v95, v90
	v_mul_f32_e32 v90, 0xbf788fa5, v36
	v_mul_f32_e32 v96, 0xbf3f9e67, v38
	v_add_f32_e32 v87, v87, v91
	v_mul_f32_e32 v91, 0x3f116cb1, v41
	v_add_f32_e32 v85, v88, v85
	v_add_f32_e32 v75, v76, v75
	;; [unrolled: 1-line block ×3, first 2 shown]
	v_mul_f32_e32 v94, 0xbf788fa5, v35
	v_sub_f32_e32 v89, v91, v89
	v_add_f32_e32 v74, v74, v96
	v_sub_f32_e32 v107, v107, v67
	v_add_f32_e32 v75, v78, v75
	;; [unrolled: 2-line block ×3, first 2 shown]
	v_mul_f32_e32 v89, 0xbf3f9e67, v46
	v_add_f32_e32 v6, v6, v4
	v_add_f32_e32 v74, v74, v75
	v_mul_f32_e32 v91, 0xbf3f9e67, v37
	v_mul_f32_e32 v90, 0x3df6dbef, v41
	v_sub_f32_e32 v89, v89, v97
	v_mul_f32_e32 v97, 0x3df6dbef, v42
	v_add_f32_e32 v6, v24, v6
	v_sub_f32_e32 v69, v91, v69
	v_mul_f32_e32 v96, 0x3f62ad3f, v46
	v_sub_f32_e32 v60, v90, v60
	v_add_f32_e32 v75, v77, v97
	v_add_f32_e32 v77, v107, v66
	v_mul_f32_e32 v83, 0x3f116cb1, v47
	v_mul_f32_e32 v103, 0x3f62ad3f, v31
	;; [unrolled: 1-line block ×4, first 2 shown]
	v_add_f32_e32 v70, v70, v77
	v_add_f32_e32 v77, v7, v5
	;; [unrolled: 1-line block ×3, first 2 shown]
	v_fmac_f32_e32 v114, 0xbf788fa5, v31
	v_add_f32_e32 v44, v44, v106
	v_add_f32_e32 v69, v69, v70
	;; [unrolled: 1-line block ×4, first 2 shown]
	v_mul_f32_e32 v100, 0x3f116cb1, v34
	v_mul_f32_e32 v104, 0x3df6dbef, v35
	v_add_f32_e32 v24, v60, v69
	v_add_f32_e32 v25, v27, v25
	v_sub_f32_e32 v27, v96, v65
	v_fmac_f32_e32 v118, 0x3f62ad3f, v33
	v_fmac_f32_e32 v68, 0xbf3f9e67, v31
	v_mul_f32_e32 v92, 0x3df6dbef, v36
	v_add_f32_e32 v21, v21, v25
	v_add_f32_e32 v25, v26, v6
	;; [unrolled: 1-line block ×3, first 2 shown]
	v_sub_f32_e32 v24, v103, v39
	v_add_f32_e32 v44, v44, v5
	v_add_f32_e32 v21, v23, v21
	;; [unrolled: 1-line block ×5, first 2 shown]
	v_mul_f32_e32 v95, 0xbeb58ec6, v37
	v_add_f32_e32 v17, v17, v21
	v_add_f32_e32 v20, v22, v20
	v_sub_f32_e32 v21, v101, v40
	v_mul_f32_e32 v102, 0xbf3f9e67, v47
	v_fmac_f32_e32 v129, 0x3df6dbef, v33
	v_add_f32_e32 v17, v19, v17
	v_add_f32_e32 v19, v16, v20
	;; [unrolled: 1-line block ×3, first 2 shown]
	v_sub_f32_e32 v21, v104, v43
	v_mul_f32_e32 v88, 0xbeb58ec6, v38
	v_add_f32_e32 v13, v13, v17
	v_add_f32_e32 v17, v18, v19
	v_fma_f32 v18, 0xbf788fa5, v32, -v112
	v_add_f32_e32 v44, v45, v44
	v_add_f32_e32 v45, v54, v92
	v_add_f32_e32 v13, v15, v13
	v_add_f32_e32 v12, v12, v17
	v_add_f32_e32 v15, v18, v5
	v_fma_f32 v17, 0x3f62ad3f, v34, -v113
	v_fmac_f32_e32 v119, 0xbf3f9e67, v35
	v_add_f32_e32 v9, v9, v13
	v_add_f32_e32 v12, v14, v12
	v_fma_f32 v14, 0xbf3f9e67, v36, -v115
	v_add_f32_e32 v13, v17, v15
	v_add_f32_e32 v99, v99, v102
	v_add_f32_e32 v9, v11, v9
	v_add_f32_e32 v8, v8, v12
	v_fma_f32 v12, 0x3f116cb1, v38, -v116
	v_add_f32_e32 v11, v14, v13
	v_fma_f32 v13, 0xbf3f9e67, v32, -v127
	v_mul_f32_e32 v102, 0xbf3f9e67, v41
	v_add_f32_e32 v8, v10, v8
	v_add_f32_e32 v19, v21, v20
	;; [unrolled: 1-line block ×3, first 2 shown]
	v_fma_f32 v11, 0xbeb58ec6, v42, -v121
	v_add_f32_e32 v12, v114, v4
	v_add_f32_e32 v5, v13, v5
	;; [unrolled: 1-line block ×3, first 2 shown]
	v_sub_f32_e32 v20, v95, v53
	v_add_f32_e32 v10, v11, v10
	v_add_f32_e32 v11, v118, v12
	v_fma_f32 v12, 0x3df6dbef, v34, -v73
	v_add_f32_e32 v4, v129, v4
	v_fmac_f32_e32 v131, 0x3f116cb1, v35
	v_mul_f32_e32 v76, 0xbf3f9e67, v42
	v_add_f32_e32 v44, v45, v44
	v_add_f32_e32 v5, v12, v5
	v_fma_f32 v12, 0x3f116cb1, v36, -v130
	v_add_f32_e32 v26, v55, v88
	v_add_f32_e32 v11, v119, v11
	v_fmac_f32_e32 v122, 0x3f116cb1, v37
	v_mul_f32_e32 v105, 0xbf788fa5, v46
	v_add_f32_e32 v18, v20, v19
	v_sub_f32_e32 v19, v102, v56
	v_add_f32_e32 v5, v12, v5
	v_fma_f32 v12, 0xbf788fa5, v38, -v123
	v_add_f32_e32 v4, v131, v4
	v_fmac_f32_e32 v128, 0xbf788fa5, v37
	v_mul_f32_e32 v78, 0xbf788fa5, v47
	v_add_f32_e32 v23, v26, v44
	v_add_f32_e32 v25, v57, v76
	v_mul_f32_e32 v108, 0x3f62ad3f, v47
	v_add_f32_e32 v11, v122, v11
	v_fmac_f32_e32 v124, 0xbeb58ec6, v41
	v_add_f32_e32 v15, v19, v18
	v_sub_f32_e32 v17, v105, v58
	v_add_f32_e32 v5, v12, v5
	v_fma_f32 v12, 0x3f62ad3f, v42, -v86
	v_add_f32_e32 v4, v128, v4
	v_fmac_f32_e32 v84, 0x3f62ad3f, v41
	v_add_f32_e32 v22, v25, v23
	v_add_f32_e32 v23, v59, v78
	v_and_b32_e32 v14, 0xffff, v64
	v_add_f32_e32 v74, v75, v74
	v_add_f32_e32 v75, v81, v108
	v_fma_f32 v13, 0x3df6dbef, v47, -v126
	v_add_f32_e32 v11, v124, v11
	v_fmac_f32_e32 v125, 0x3df6dbef, v46
	v_add_f32_e32 v15, v17, v15
	v_add_f32_e32 v12, v12, v5
	v_fma_f32 v17, 0xbeb58ec6, v47, -v98
	v_add_f32_e32 v18, v84, v4
	v_fmac_f32_e32 v93, 0xbeb58ec6, v46
	v_add_f32_e32 v16, v23, v22
	v_add_f32_e32 v9, v29, v9
	;; [unrolled: 1-line block ×3, first 2 shown]
	v_add_lshl_u32 v14, v30, v14, 3
	v_add_f32_e32 v67, v99, v87
	v_add_f32_e32 v66, v89, v85
	;; [unrolled: 1-line block ×7, first 2 shown]
	ds_write2_b64 v14, v[8:9], v[15:16] offset1:1
	ds_write2_b64 v14, v[6:7], v[66:67] offset0:2 offset1:3
	ds_write2_b64 v14, v[82:83], v[79:80] offset0:4 offset1:5
	;; [unrolled: 1-line block ×5, first 2 shown]
	ds_write_b64 v14, v[2:3] offset:96
.LBB0_7:
	s_or_b32 exec_lo, exec_lo, s4
	v_and_b32_e32 v4, 0xff, v61
	v_add_nc_u16 v5, v61, 39
	v_add_nc_u16 v8, v61, 0x4e
	v_mov_b32_e32 v9, 4
	s_load_dwordx4 s[4:7], s[2:3], 0x0
	v_mul_lo_u16 v4, 0x4f, v4
	v_and_b32_e32 v6, 0xff, v5
	s_waitcnt lgkmcnt(0)
	s_barrier
	buffer_gl0_inv
	v_lshrrev_b16 v24, 10, v4
	v_and_b32_e32 v4, 0xff, v8
	v_mul_lo_u16 v6, 0x4f, v6
	v_add_lshl_u32 v67, v30, v61, 3
	v_mov_b32_e32 v32, 39
	v_mul_lo_u16 v7, v24, 13
	v_mul_lo_u16 v4, 0x4f, v4
	v_lshrrev_b16 v28, 10, v6
	v_add_nc_u32_e32 v46, 0x400, v67
	v_mul_u32_u24_sdwa v33, v24, v32 dst_sel:DWORD dst_unused:UNUSED_PAD src0_sel:WORD_0 src1_sel:DWORD
	v_sub_nc_u16 v29, v61, v7
	v_lshrrev_b16 v31, 10, v4
	v_mul_lo_u16 v4, v28, 13
	v_mul_u32_u24_sdwa v39, v28, v32 dst_sel:DWORD dst_unused:UNUSED_PAD src0_sel:WORD_0 src1_sel:DWORD
	v_lshlrev_b32_e32 v37, 6, v61
	v_lshlrev_b32_sdwa v6, v9, v29 dst_sel:DWORD dst_unused:UNUSED_PAD src0_sel:DWORD src1_sel:BYTE_0
	v_mul_lo_u16 v10, v31, 13
	v_sub_nc_u16 v35, v5, v4
	v_add_nc_u32_sdwa v38, v33, v29 dst_sel:DWORD dst_unused:UNUSED_PAD src0_sel:DWORD src1_sel:BYTE_0
	v_mul_u32_u24_sdwa v40, v31, v32 dst_sel:DWORD dst_unused:UNUSED_PAD src0_sel:WORD_0 src1_sel:DWORD
	global_load_dwordx4 v[4:7], v6, s[0:1]
	v_sub_nc_u16 v36, v8, v10
	v_lshlrev_b32_sdwa v8, v9, v35 dst_sel:DWORD dst_unused:UNUSED_PAD src0_sel:DWORD src1_sel:BYTE_0
	v_add_nc_u32_sdwa v35, v39, v35 dst_sel:DWORD dst_unused:UNUSED_PAD src0_sel:DWORD src1_sel:BYTE_0
	v_add_lshl_u32 v70, v30, v38, 3
	v_lshl_add_u32 v65, v61, 3, v63
	v_lshlrev_b32_sdwa v12, v9, v36 dst_sel:DWORD dst_unused:UNUSED_PAD src0_sel:DWORD src1_sel:BYTE_0
	v_add_nc_u32_sdwa v36, v40, v36 dst_sel:DWORD dst_unused:UNUSED_PAD src0_sel:DWORD src1_sel:BYTE_0
	v_add_lshl_u32 v69, v30, v35, 3
	s_clause 0x1
	global_load_dwordx4 v[8:11], v8, s[0:1]
	global_load_dwordx4 v[12:15], v12, s[0:1]
	ds_read2_b64 v[16:19], v67 offset0:78 offset1:117
	ds_read2_b64 v[20:23], v46 offset0:106 offset1:145
	ds_read2_b64 v[24:27], v67 offset0:156 offset1:195
	ds_read2_b64 v[31:34], v67 offset1:39
	ds_read_b64 v[28:29], v67 offset:2496
	v_add_lshl_u32 v68, v30, v36, 3
	s_waitcnt vmcnt(0) lgkmcnt(0)
	s_barrier
	buffer_gl0_inv
	v_lshl_add_u32 v66, v61, 3, v63
	v_add_nc_u32_e32 v55, 0x800, v65
	v_mul_f32_e32 v35, v19, v5
	v_mul_f32_e32 v38, v18, v5
	;; [unrolled: 1-line block ×4, first 2 shown]
	v_fma_f32 v18, v18, v4, -v35
	v_fmac_f32_e32 v38, v19, v4
	v_fma_f32 v19, v20, v6, -v39
	v_fmac_f32_e32 v40, v21, v6
	v_mul_f32_e32 v20, v25, v9
	v_mul_f32_e32 v30, v24, v9
	v_mul_f32_e32 v21, v23, v11
	v_mul_f32_e32 v35, v22, v11
	v_mul_f32_e32 v36, v27, v13
	v_mul_f32_e32 v41, v29, v15
	v_mul_f32_e32 v39, v26, v13
	v_mul_f32_e32 v42, v28, v15
	v_fma_f32 v24, v24, v8, -v20
	v_fmac_f32_e32 v30, v25, v8
	v_fma_f32 v25, v22, v10, -v21
	v_fmac_f32_e32 v35, v23, v10
	v_fma_f32 v22, v26, v12, -v36
	v_fma_f32 v26, v28, v14, -v41
	v_add_f32_e32 v20, v31, v18
	v_add_f32_e32 v21, v18, v19
	;; [unrolled: 1-line block ×3, first 2 shown]
	v_fmac_f32_e32 v39, v27, v12
	v_fmac_f32_e32 v42, v29, v14
	v_add_f32_e32 v27, v32, v38
	v_sub_f32_e32 v29, v18, v19
	v_add_f32_e32 v18, v20, v19
	v_fma_f32 v20, -0.5, v21, v31
	v_fma_f32 v21, -0.5, v28, v32
	v_add_f32_e32 v28, v24, v25
	v_sub_f32_e32 v31, v30, v35
	v_add_f32_e32 v32, v34, v30
	v_add_f32_e32 v30, v30, v35
	v_sub_f32_e32 v23, v38, v40
	v_add_f32_e32 v19, v27, v40
	;; [unrolled: 3-line block ×3, first 2 shown]
	v_add_f32_e32 v39, v39, v42
	v_add_f32_e32 v27, v33, v24
	v_sub_f32_e32 v36, v24, v25
	v_fma_f32 v33, -0.5, v28, v33
	v_fmac_f32_e32 v34, -0.5, v30
	v_add_f32_e32 v38, v16, v22
	v_sub_f32_e32 v44, v22, v26
	v_fma_f32 v16, -0.5, v40, v16
	v_fmac_f32_e32 v17, -0.5, v39
	v_fmamk_f32 v22, v23, 0x3f5db3d7, v20
	v_fmac_f32_e32 v20, 0xbf5db3d7, v23
	v_fmamk_f32 v23, v29, 0xbf5db3d7, v21
	v_fmac_f32_e32 v21, 0x3f5db3d7, v29
	v_add_f32_e32 v24, v27, v25
	v_add_f32_e32 v25, v32, v35
	v_fmamk_f32 v28, v31, 0x3f5db3d7, v33
	v_fmamk_f32 v29, v36, 0xbf5db3d7, v34
	v_fmac_f32_e32 v33, 0xbf5db3d7, v31
	v_fmac_f32_e32 v34, 0x3f5db3d7, v36
	v_add_f32_e32 v26, v38, v26
	v_add_f32_e32 v27, v43, v42
	v_fmamk_f32 v30, v41, 0x3f5db3d7, v16
	v_fmac_f32_e32 v16, 0xbf5db3d7, v41
	v_fmamk_f32 v31, v44, 0xbf5db3d7, v17
	v_fmac_f32_e32 v17, 0x3f5db3d7, v44
	ds_write2_b64 v70, v[18:19], v[22:23] offset1:13
	ds_write_b64 v70, v[20:21] offset:208
	ds_write2_b64 v69, v[24:25], v[28:29] offset1:13
	ds_write_b64 v69, v[33:34] offset:208
	;; [unrolled: 2-line block ×3, first 2 shown]
	s_waitcnt lgkmcnt(0)
	s_barrier
	buffer_gl0_inv
	s_clause 0x3
	global_load_dwordx4 v[28:31], v37, s[0:1] offset:208
	global_load_dwordx4 v[24:27], v37, s[0:1] offset:224
	;; [unrolled: 1-line block ×4, first 2 shown]
	ds_read2_b64 v[34:37], v67 offset1:39
	ds_read2_b64 v[38:41], v67 offset0:78 offset1:117
	ds_read2_b64 v[42:45], v67 offset0:156 offset1:195
	;; [unrolled: 1-line block ×3, first 2 shown]
	ds_read_b64 v[32:33], v67 offset:2496
	s_waitcnt vmcnt(3) lgkmcnt(4)
	v_mul_f32_e32 v46, v37, v29
	v_mul_f32_e32 v47, v36, v29
	s_waitcnt lgkmcnt(3)
	v_mul_f32_e32 v53, v39, v31
	v_mul_f32_e32 v54, v38, v31
	s_waitcnt vmcnt(2)
	v_mul_f32_e32 v60, v41, v25
	s_waitcnt lgkmcnt(2)
	v_mul_f32_e32 v72, v43, v27
	v_mul_f32_e32 v73, v42, v27
	s_waitcnt vmcnt(1)
	v_mul_f32_e32 v74, v45, v21
	v_mul_f32_e32 v75, v44, v21
	s_waitcnt vmcnt(0) lgkmcnt(1)
	v_mul_f32_e32 v78, v59, v17
	v_mul_f32_e32 v79, v58, v17
	s_waitcnt lgkmcnt(0)
	v_mul_f32_e32 v80, v33, v19
	v_mul_f32_e32 v81, v32, v19
	;; [unrolled: 1-line block ×5, first 2 shown]
	v_fma_f32 v36, v36, v28, -v46
	v_fmac_f32_e32 v47, v37, v28
	v_fma_f32 v37, v38, v30, -v53
	v_fmac_f32_e32 v54, v39, v30
	v_fma_f32 v38, v40, v24, -v60
	v_fma_f32 v39, v42, v26, -v72
	v_fmac_f32_e32 v73, v43, v26
	v_fma_f32 v40, v44, v20, -v74
	v_fmac_f32_e32 v75, v45, v20
	;; [unrolled: 2-line block ×4, first 2 shown]
	v_fmac_f32_e32 v71, v41, v24
	v_fma_f32 v41, v56, v22, -v76
	v_fmac_f32_e32 v77, v57, v22
	v_add_f32_e32 v42, v36, v32
	v_add_f32_e32 v43, v47, v81
	;; [unrolled: 1-line block ×4, first 2 shown]
	v_sub_f32_e32 v36, v36, v32
	v_sub_f32_e32 v47, v47, v81
	;; [unrolled: 1-line block ×4, first 2 shown]
	v_add_f32_e32 v58, v39, v40
	v_add_f32_e32 v59, v73, v75
	;; [unrolled: 1-line block ×4, first 2 shown]
	v_sub_f32_e32 v37, v37, v33
	v_sub_f32_e32 v54, v54, v79
	;; [unrolled: 1-line block ×4, first 2 shown]
	v_mul_f32_e32 v60, 0x3f248dbb, v36
	v_mul_f32_e32 v71, 0x3f248dbb, v47
	v_fmamk_f32 v72, v42, 0x3f441b7d, v34
	v_fmamk_f32 v74, v43, 0x3f441b7d, v35
	v_mul_f32_e32 v76, 0xbf248dbb, v56
	v_mul_f32_e32 v77, 0xbf248dbb, v57
	v_fmamk_f32 v78, v58, 0x3f441b7d, v34
	v_fmamk_f32 v79, v59, 0x3f441b7d, v35
	v_add_f32_e32 v82, v44, v42
	v_add_f32_e32 v83, v45, v43
	v_mul_f32_e32 v84, 0x3f7c1c5c, v56
	v_mul_f32_e32 v85, 0x3f7c1c5c, v57
	v_fmamk_f32 v86, v44, 0x3f441b7d, v34
	v_fmamk_f32 v87, v45, 0x3f441b7d, v35
	v_fmac_f32_e32 v60, 0x3f7c1c5c, v37
	v_fmac_f32_e32 v71, 0x3f7c1c5c, v54
	;; [unrolled: 1-line block ×8, first 2 shown]
	v_add_f32_e32 v88, v58, v82
	v_add_f32_e32 v89, v59, v83
	v_fma_f32 v84, 0xbf248dbb, v37, -v84
	v_fma_f32 v85, 0xbf248dbb, v54, -v85
	v_add_f32_e32 v82, v46, v82
	v_add_f32_e32 v83, v53, v83
	v_fmac_f32_e32 v86, 0x3e31d0d4, v58
	v_fmac_f32_e32 v87, 0x3e31d0d4, v59
	v_add_f32_e32 v80, v56, v36
	v_add_f32_e32 v81, v57, v47
	;; [unrolled: 1-line block ×4, first 2 shown]
	v_fmac_f32_e32 v60, 0x3f5db3d7, v38
	v_fmac_f32_e32 v71, 0x3f5db3d7, v41
	v_fmac_f32_e32 v72, -0.5, v46
	v_fmac_f32_e32 v74, -0.5, v53
	v_fmac_f32_e32 v76, 0xbf5db3d7, v38
	v_fmac_f32_e32 v77, 0xbf5db3d7, v41
	v_fmac_f32_e32 v78, -0.5, v46
	v_fmac_f32_e32 v79, -0.5, v53
	v_fmac_f32_e32 v84, 0x3f5db3d7, v38
	v_fmac_f32_e32 v85, 0x3f5db3d7, v41
	v_add_f32_e32 v38, v39, v82
	v_add_f32_e32 v39, v73, v83
	v_fmac_f32_e32 v86, -0.5, v46
	v_fmac_f32_e32 v87, -0.5, v53
	v_sub_f32_e32 v80, v80, v37
	v_sub_f32_e32 v81, v81, v54
	v_fmac_f32_e32 v32, -0.5, v88
	v_fmac_f32_e32 v33, -0.5, v89
	v_fmac_f32_e32 v60, 0x3eaf1d44, v56
	v_fmac_f32_e32 v71, 0x3eaf1d44, v57
	;; [unrolled: 1-line block ×10, first 2 shown]
	v_add_f32_e32 v36, v40, v38
	v_add_f32_e32 v37, v75, v39
	v_fmac_f32_e32 v86, 0xbf708fb2, v42
	v_fmac_f32_e32 v87, 0xbf708fb2, v43
	v_mul_f32_e32 v90, 0x3f5db3d7, v80
	v_mul_f32_e32 v91, 0x3f5db3d7, v81
	v_fmac_f32_e32 v32, 0x3f5db3d7, v81
	v_fmac_f32_e32 v33, 0xbf5db3d7, v80
	v_add_f32_e32 v44, v71, v72
	v_sub_f32_e32 v45, v74, v60
	v_add_f32_e32 v46, v77, v78
	v_sub_f32_e32 v47, v79, v76
	v_add_f32_e32 v53, v36, v34
	v_add_f32_e32 v54, v37, v35
	v_add_f32_e32 v34, v85, v86
	v_sub_f32_e32 v35, v87, v84
	v_fma_f32 v42, -2.0, v91, v32
	v_fma_f32 v43, 2.0, v90, v33
	v_fma_f32 v38, -2.0, v71, v44
	v_fma_f32 v39, 2.0, v60, v45
	v_fma_f32 v36, -2.0, v77, v46
	v_fma_f32 v40, -2.0, v85, v34
	v_fma_f32 v41, 2.0, v84, v35
	v_fma_f32 v37, 2.0, v76, v47
	ds_write_b64 v66, v[53:54]
	ds_write2_b64 v65, v[44:45], v[46:47] offset0:39 offset1:78
	ds_write2_b64 v65, v[32:33], v[34:35] offset0:117 offset1:156
	;; [unrolled: 1-line block ×4, first 2 shown]
	s_waitcnt lgkmcnt(0)
	s_barrier
	buffer_gl0_inv
	s_and_saveexec_b32 s1, vcc_lo
	s_cbranch_execz .LBB0_9
; %bb.8:
	v_add_co_u32 v60, s0, s14, v62
	v_add_co_ci_u32_e64 v72, null, s15, 0, s0
	v_add_nc_u32_e32 v116, 0x400, v65
	v_add_co_u32 v56, s0, 0x800, v60
	v_add_co_ci_u32_e64 v57, s0, 0, v72, s0
	v_add_co_u32 v58, s0, 0xaf8, v60
	v_add_co_ci_u32_e64 v59, s0, 0, v72, s0
	global_load_dwordx2 v[56:57], v[56:57], off offset:760
	v_add_co_u32 v71, s0, 0x1000, v60
	s_clause 0x4
	global_load_dwordx2 v[91:92], v[58:59], off offset:216
	global_load_dwordx2 v[93:94], v[58:59], off offset:432
	;; [unrolled: 1-line block ×5, first 2 shown]
	v_add_co_ci_u32_e64 v72, s0, 0, v72, s0
	s_clause 0x6
	global_load_dwordx2 v[101:102], v[58:59], off offset:1296
	global_load_dwordx2 v[103:104], v[58:59], off offset:1512
	global_load_dwordx2 v[105:106], v[58:59], off offset:1728
	global_load_dwordx2 v[107:108], v[71:72], off offset:872
	global_load_dwordx2 v[109:110], v[71:72], off offset:1088
	global_load_dwordx2 v[111:112], v[58:59], off offset:1944
	global_load_dwordx2 v[113:114], v[71:72], off offset:1304
	ds_read_b64 v[58:59], v66
	s_waitcnt vmcnt(12) lgkmcnt(0)
	v_mul_f32_e32 v60, v59, v57
	v_mul_f32_e32 v72, v58, v57
	v_fma_f32 v71, v58, v56, -v60
	v_fmac_f32_e32 v72, v59, v56
	ds_write_b64 v66, v[71:72]
	ds_read2_b64 v[56:59], v65 offset0:27 offset1:54
	ds_read2_b64 v[71:74], v65 offset0:81 offset1:108
	;; [unrolled: 1-line block ×6, first 2 shown]
	s_waitcnt vmcnt(11) lgkmcnt(5)
	v_mul_f32_e32 v117, v57, v92
	v_mul_f32_e32 v115, v56, v92
	s_waitcnt vmcnt(10)
	v_mul_f32_e32 v118, v59, v94
	v_mul_f32_e32 v92, v58, v94
	s_waitcnt vmcnt(9) lgkmcnt(4)
	v_mul_f32_e32 v119, v72, v96
	v_mul_f32_e32 v60, v71, v96
	s_waitcnt vmcnt(8)
	v_mul_f32_e32 v120, v74, v98
	v_mul_f32_e32 v94, v73, v98
	;; [unrolled: 6-line block ×4, first 2 shown]
	s_waitcnt vmcnt(1) lgkmcnt(1)
	v_mul_f32_e32 v125, v84, v112
	v_mul_f32_e32 v104, v83, v112
	;; [unrolled: 1-line block ×4, first 2 shown]
	s_waitcnt lgkmcnt(0)
	v_mul_f32_e32 v126, v88, v110
	v_mul_f32_e32 v108, v87, v110
	s_waitcnt vmcnt(0)
	v_mul_f32_e32 v127, v90, v114
	v_mul_f32_e32 v110, v89, v114
	v_fma_f32 v114, v56, v91, -v117
	v_fmac_f32_e32 v115, v57, v91
	v_fma_f32 v91, v58, v93, -v118
	v_fmac_f32_e32 v92, v59, v93
	;; [unrolled: 2-line block ×12, first 2 shown]
	ds_write2_b64 v65, v[114:115], v[91:92] offset0:27 offset1:54
	ds_write2_b64 v65, v[59:60], v[93:94] offset0:81 offset1:108
	;; [unrolled: 1-line block ×6, first 2 shown]
.LBB0_9:
	s_or_b32 exec_lo, exec_lo, s1
	s_waitcnt lgkmcnt(0)
	s_barrier
	buffer_gl0_inv
	s_and_saveexec_b32 s0, vcc_lo
	s_cbranch_execz .LBB0_11
; %bb.10:
	v_add_nc_u32_e32 v0, 0x400, v66
	v_add_nc_u32_e32 v1, 0x800, v66
	ds_read2_b64 v[55:58], v0 offset0:115 offset1:142
	ds_read2_b64 v[0:3], v1 offset0:41 offset1:68
	ds_read_b64 v[53:54], v66
	ds_read2_b64 v[44:47], v66 offset0:27 offset1:54
	ds_read2_b64 v[32:35], v66 offset0:81 offset1:108
	;; [unrolled: 1-line block ×4, first 2 shown]
	s_waitcnt lgkmcnt(6)
	v_mov_b32_e32 v51, v55
	v_mov_b32_e32 v52, v56
	;; [unrolled: 1-line block ×4, first 2 shown]
.LBB0_11:
	s_or_b32 exec_lo, exec_lo, s0
	s_waitcnt lgkmcnt(0)
	s_barrier
	buffer_gl0_inv
	s_and_saveexec_b32 s0, vcc_lo
	s_cbranch_execz .LBB0_13
; %bb.12:
	v_add_f32_e32 v85, v3, v45
	v_sub_f32_e32 v75, v44, v2
	v_add_f32_e32 v87, v1, v47
	v_sub_f32_e32 v72, v46, v0
	v_add_f32_e32 v88, v50, v33
	v_mul_f32_e32 v89, 0xbf788fa5, v85
	v_sub_f32_e32 v73, v32, v49
	v_mul_f32_e32 v91, 0x3f62ad3f, v87
	v_add_f32_e32 v90, v52, v35
	v_mul_f32_e32 v93, 0xbf3f9e67, v88
	v_fmamk_f32 v55, v75, 0x3e750f2a, v89
	v_sub_f32_e32 v94, v45, v3
	v_fmamk_f32 v56, v72, 0xbeedf032, v91
	v_sub_f32_e32 v71, v34, v51
	v_add_f32_e32 v92, v39, v41
	v_add_f32_e32 v55, v54, v55
	;; [unrolled: 1-line block ×3, first 2 shown]
	v_mul_f32_e32 v95, 0x3f116cb1, v90
	v_fmamk_f32 v57, v73, 0x3f29c268, v93
	v_sub_f32_e32 v96, v47, v1
	v_add_f32_e32 v55, v56, v55
	v_mul_f32_e32 v98, 0xbe750f2a, v94
	v_sub_f32_e32 v74, v40, v38
	v_mul_f32_e32 v97, 0xbeb58ec6, v92
	v_fmamk_f32 v56, v71, 0xbf52af12, v95
	v_add_f32_e32 v55, v57, v55
	v_add_f32_e32 v78, v0, v46
	v_mul_f32_e32 v99, 0x3eedf032, v96
	v_fmamk_f32 v58, v76, 0xbf788fa5, v98
	v_sub_f32_e32 v101, v33, v50
	v_fmamk_f32 v57, v74, 0x3f6f5d39, v97
	v_add_f32_e32 v55, v56, v55
	v_add_f32_e32 v100, v37, v43
	v_fmamk_f32 v56, v78, 0x3f62ad3f, v99
	v_add_f32_e32 v58, v53, v58
	v_add_f32_e32 v79, v49, v32
	v_mul_f32_e32 v102, 0xbf29c268, v101
	v_sub_f32_e32 v104, v35, v52
	v_add_f32_e32 v55, v57, v55
	v_mul_f32_e32 v103, 0x3df6dbef, v100
	v_sub_f32_e32 v77, v42, v36
	v_add_f32_e32 v56, v56, v58
	v_fmamk_f32 v57, v79, 0xbf3f9e67, v102
	v_add_f32_e32 v80, v51, v34
	v_mul_f32_e32 v105, 0x3f52af12, v104
	v_fmamk_f32 v58, v77, 0xbf7e222b, v103
	v_sub_f32_e32 v106, v41, v39
	v_add_f32_e32 v57, v57, v56
	v_mul_f32_e32 v107, 0xbf3f9e67, v85
	v_fmamk_f32 v59, v80, 0x3f116cb1, v105
	v_add_f32_e32 v56, v58, v55
	v_add_f32_e32 v82, v38, v40
	v_mul_f32_e32 v108, 0xbf6f5d39, v106
	v_sub_f32_e32 v109, v43, v37
	v_add_f32_e32 v55, v59, v57
	v_fmamk_f32 v57, v75, 0x3f29c268, v107
	v_mul_f32_e32 v110, 0x3df6dbef, v87
	v_fmamk_f32 v58, v82, 0xbeb58ec6, v108
	v_add_f32_e32 v81, v36, v42
	v_mul_f32_e32 v111, 0x3f7e222b, v109
	v_add_f32_e32 v57, v54, v57
	v_fmamk_f32 v59, v72, 0xbf7e222b, v110
	v_mul_f32_e32 v112, 0x3f116cb1, v88
	v_add_f32_e32 v55, v58, v55
	v_fmamk_f32 v58, v81, 0x3df6dbef, v111
	;; [unrolled: 3-line block ×43, first 2 shown]
	v_mul_f32_e32 v157, 0x3f62ad3f, v100
	v_add_f32_e32 v45, v45, v54
	v_add_f32_e32 v86, v155, v86
	v_fmamk_f32 v155, v79, 0xbf788fa5, v156
	v_add_f32_e32 v149, v152, v149
	v_fmamk_f32 v152, v77, 0xbeedf032, v157
	v_mul_f32_e32 v159, 0x3f62ad3f, v85
	v_add_f32_e32 v45, v47, v45
	v_add_f32_e32 v44, v44, v53
	;; [unrolled: 1-line block ×4, first 2 shown]
	v_fmamk_f32 v149, v75, 0x3eedf032, v159
	v_mul_f32_e32 v87, 0x3f116cb1, v87
	v_add_f32_e32 v33, v33, v45
	v_add_f32_e32 v44, v46, v44
	v_mul_f32_e32 v88, 0x3df6dbef, v88
	v_add_f32_e32 v149, v54, v149
	v_fmamk_f32 v161, v72, 0x3f52af12, v87
	v_mul_f32_e32 v45, 0xbeedf032, v94
	v_add_f32_e32 v33, v35, v33
	v_add_f32_e32 v32, v32, v44
	v_mul_f32_e32 v90, 0xbeb58ec6, v90
	v_add_f32_e32 v149, v161, v149
	v_fmamk_f32 v161, v73, 0x3f7e222b, v88
	v_fmamk_f32 v35, v76, 0x3f62ad3f, v45
	v_mul_f32_e32 v44, 0xbf52af12, v96
	v_add_f32_e32 v33, v41, v33
	v_add_f32_e32 v32, v34, v32
	;; [unrolled: 1-line block ×3, first 2 shown]
	v_fmamk_f32 v149, v71, 0x3f6f5d39, v90
	v_mul_f32_e32 v92, 0xbf3f9e67, v92
	v_add_f32_e32 v34, v53, v35
	v_fmamk_f32 v35, v78, 0x3f116cb1, v44
	v_mul_f32_e32 v41, 0xbf7e222b, v101
	v_add_f32_e32 v33, v43, v33
	v_add_f32_e32 v32, v40, v32
	v_add_f32_e32 v46, v149, v47
	v_fmamk_f32 v47, v74, 0x3f29c268, v92
	v_mul_f32_e32 v43, 0xbf788fa5, v100
	v_add_f32_e32 v34, v35, v34
	v_fmamk_f32 v35, v79, 0x3df6dbef, v41
	v_add_f32_e32 v33, v37, v33
	v_add_f32_e32 v32, v42, v32
	v_mul_f32_e32 v40, 0xbf6f5d39, v104
	v_add_f32_e32 v46, v47, v46
	v_fmamk_f32 v37, v77, 0x3e750f2a, v43
	v_add_f32_e32 v34, v35, v34
	v_add_f32_e32 v35, v39, v33
	;; [unrolled: 1-line block ×3, first 2 shown]
	v_fmamk_f32 v36, v80, 0xbeb58ec6, v40
	v_mul_f32_e32 v42, 0xbf29c268, v106
	v_add_f32_e32 v33, v37, v46
	v_add_f32_e32 v35, v52, v35
	;; [unrolled: 1-line block ×4, first 2 shown]
	v_fmamk_f32 v36, v82, 0xbf3f9e67, v42
	v_mul_f32_e32 v46, 0xbe750f2a, v109
	v_add_f32_e32 v35, v50, v35
	v_add_f32_e32 v32, v51, v32
	v_fmac_f32_e32 v89, 0xbe750f2a, v75
	v_add_f32_e32 v34, v36, v34
	v_fmamk_f32 v36, v81, 0xbf788fa5, v46
	v_add_f32_e32 v1, v1, v35
	v_add_f32_e32 v35, v49, v32
	;; [unrolled: 1-line block ×3, first 2 shown]
	v_fmac_f32_e32 v91, 0x3eedf032, v72
	v_add_f32_e32 v32, v36, v34
	v_fma_f32 v34, 0xbf788fa5, v76, -v98
	v_add_f32_e32 v1, v3, v1
	v_add_f32_e32 v0, v0, v35
	;; [unrolled: 1-line block ×3, first 2 shown]
	v_fmac_f32_e32 v93, 0xbf29c268, v73
	v_add_f32_e32 v34, v53, v34
	v_fma_f32 v35, 0x3f62ad3f, v78, -v99
	v_fmac_f32_e32 v107, 0xbf29c268, v75
	v_add_f32_e32 v0, v2, v0
	v_add_f32_e32 v2, v93, v3
	v_fmac_f32_e32 v95, 0x3f52af12, v71
	v_add_f32_e32 v3, v35, v34
	v_fma_f32 v34, 0xbf3f9e67, v79, -v102
	v_add_f32_e32 v35, v54, v107
	v_fmac_f32_e32 v110, 0x3f7e222b, v72
	v_add_f32_e32 v2, v95, v2
	v_fmac_f32_e32 v97, 0xbf6f5d39, v74
	v_add_f32_e32 v3, v34, v3
	v_fma_f32 v34, 0x3f116cb1, v80, -v105
	v_add_f32_e32 v35, v110, v35
	v_fmac_f32_e32 v112, 0xbf52af12, v73
	;; [unrolled: 6-line block ×3, first 2 shown]
	v_add_f32_e32 v3, v103, v2
	v_fma_f32 v2, 0xbf3f9e67, v76, -v113
	v_add_f32_e32 v34, v36, v34
	v_fma_f32 v36, 0x3df6dbef, v81, -v111
	v_add_f32_e32 v35, v114, v35
	v_fmac_f32_e32 v116, 0x3eedf032, v74
	v_add_f32_e32 v37, v53, v2
	v_fma_f32 v38, 0x3df6dbef, v78, -v115
	v_add_f32_e32 v2, v36, v34
	v_fmac_f32_e32 v120, 0xbf6f5d39, v75
	v_add_f32_e32 v34, v116, v35
	v_fmac_f32_e32 v118, 0xbf6f5d39, v77
	v_add_f32_e32 v36, v38, v37
	v_fma_f32 v37, 0x3f116cb1, v79, -v117
	v_add_f32_e32 v38, v54, v120
	v_fmac_f32_e32 v122, 0x3f29c268, v72
	v_add_f32_e32 v35, v118, v34
	v_fma_f32 v34, 0xbeb58ec6, v76, -v125
	v_add_f32_e32 v36, v37, v36
	v_fma_f32 v37, 0xbf788fa5, v80, -v119
	v_add_f32_e32 v38, v122, v38
	v_fmac_f32_e32 v124, 0x3eedf032, v73
	v_add_f32_e32 v34, v53, v34
	v_fma_f32 v39, 0xbf3f9e67, v78, -v127
	;; [unrolled: 6-line block ×4, first 2 shown]
	v_fmac_f32_e32 v132, 0xbf7e222b, v75
	v_add_f32_e32 v34, v37, v36
	v_add_f32_e32 v36, v128, v38
	v_fmac_f32_e32 v130, 0x3f52af12, v77
	v_add_f32_e32 v38, v47, v39
	v_fma_f32 v39, 0xbf788fa5, v82, -v133
	v_add_f32_e32 v47, v54, v132
	v_fmac_f32_e32 v134, 0xbe750f2a, v72
	v_add_f32_e32 v37, v130, v36
	v_fma_f32 v36, 0x3df6dbef, v76, -v137
	v_add_f32_e32 v38, v39, v38
	v_fma_f32 v39, 0x3f116cb1, v81, -v135
	v_add_f32_e32 v47, v134, v47
	v_fmac_f32_e32 v136, 0x3f6f5d39, v73
	v_add_f32_e32 v49, v53, v36
	v_fma_f32 v50, 0xbf788fa5, v78, -v139
	v_add_f32_e32 v36, v39, v38
	v_fmac_f32_e32 v145, 0xbf52af12, v75
	v_add_f32_e32 v38, v136, v47
	v_fmac_f32_e32 v138, 0x3eedf032, v71
	v_add_f32_e32 v39, v50, v49
	v_fma_f32 v47, 0xbeb58ec6, v79, -v142
	v_add_f32_e32 v49, v54, v145
	v_fmac_f32_e32 v148, 0xbf6f5d39, v72
	v_add_f32_e32 v38, v138, v38
	v_fmac_f32_e32 v140, 0xbf52af12, v74
	v_add_f32_e32 v39, v47, v39
	v_fma_f32 v47, 0x3f62ad3f, v80, -v144
	v_add_f32_e32 v49, v148, v49
	v_fmac_f32_e32 v150, 0xbe750f2a, v73
	v_add_f32_e32 v38, v140, v38
	v_fmac_f32_e32 v143, 0xbf29c268, v77
	v_add_f32_e32 v47, v47, v39
	v_fma_f32 v50, 0x3f116cb1, v82, -v147
	v_add_f32_e32 v49, v150, v49
	v_fmac_f32_e32 v153, 0x3f29c268, v71
	v_add_f32_e32 v39, v143, v38
	v_fma_f32 v38, 0x3f116cb1, v76, -v151
	v_add_f32_e32 v47, v50, v47
	v_fma_f32 v50, 0xbf3f9e67, v81, -v146
	v_add_f32_e32 v49, v153, v49
	v_fmac_f32_e32 v154, 0x3f7e222b, v74
	v_add_f32_e32 v51, v53, v38
	v_fma_f32 v52, 0xbeb58ec6, v78, -v141
	v_fmac_f32_e32 v159, 0xbeedf032, v75
	v_fma_f32 v45, 0x3f62ad3f, v76, -v45
	v_mul_f32_e32 v158, 0x3f29c268, v104
	v_add_f32_e32 v38, v50, v47
	v_add_f32_e32 v47, v154, v49
	;; [unrolled: 1-line block ×3, first 2 shown]
	v_fma_f32 v50, 0xbf788fa5, v79, -v156
	v_add_f32_e32 v51, v54, v159
	v_fmac_f32_e32 v87, 0xbf52af12, v72
	v_add_f32_e32 v45, v53, v45
	v_fma_f32 v44, 0x3f116cb1, v78, -v44
	v_mul_f32_e32 v160, 0x3f7e222b, v106
	v_add_f32_e32 v49, v50, v49
	v_fma_f32 v50, 0xbf3f9e67, v80, -v158
	v_add_f32_e32 v51, v87, v51
	v_fmac_f32_e32 v88, 0xbf7e222b, v73
	v_add_f32_e32 v44, v44, v45
	v_fma_f32 v41, 0x3df6dbef, v79, -v41
	v_fmamk_f32 v155, v80, 0xbf3f9e67, v158
	v_add_f32_e32 v45, v50, v49
	v_fma_f32 v49, 0x3df6dbef, v82, -v160
	v_add_f32_e32 v50, v88, v51
	v_fmac_f32_e32 v90, 0xbf6f5d39, v71
	v_add_f32_e32 v41, v41, v44
	v_fma_f32 v40, 0xbeb58ec6, v80, -v40
	v_add_f32_e32 v85, v155, v85
	v_fmamk_f32 v152, v82, 0x3df6dbef, v160
	v_mul_f32_e32 v155, 0x3eedf032, v109
	v_add_f32_e32 v44, v49, v45
	v_add_f32_e32 v45, v90, v50
	v_fmac_f32_e32 v92, 0xbf29c268, v74
	v_add_f32_e32 v40, v40, v41
	v_fma_f32 v41, 0xbf3f9e67, v82, -v42
	v_and_b32_e32 v49, 0xffff, v64
	v_add_f32_e32 v85, v152, v85
	v_fmamk_f32 v152, v81, 0x3f62ad3f, v155
	v_fmac_f32_e32 v157, 0x3eedf032, v77
	v_fma_f32 v42, 0x3f62ad3f, v81, -v155
	v_add_f32_e32 v45, v92, v45
	v_fmac_f32_e32 v43, 0xbe750f2a, v77
	v_add_f32_e32 v50, v41, v40
	v_fma_f32 v46, 0xbf788fa5, v81, -v46
	v_lshl_add_u32 v49, v49, 3, v63
	v_add_f32_e32 v85, v152, v85
	v_add_f32_e32 v41, v157, v47
	;; [unrolled: 1-line block ×5, first 2 shown]
	ds_write2_b64 v49, v[0:1], v[32:33] offset1:1
	ds_write2_b64 v49, v[85:86], v[83:84] offset0:2 offset1:3
	ds_write2_b64 v49, v[59:60], v[57:58] offset0:4 offset1:5
	;; [unrolled: 1-line block ×5, first 2 shown]
	ds_write_b64 v49, v[42:43] offset:96
.LBB0_13:
	s_or_b32 exec_lo, exec_lo, s0
	s_waitcnt lgkmcnt(0)
	s_barrier
	buffer_gl0_inv
	ds_read2_b64 v[0:3], v67 offset0:78 offset1:117
	ds_read2_b64 v[32:35], v67 offset0:156 offset1:195
	v_add_nc_u32_e32 v46, 0x400, v67
	ds_read_b64 v[44:45], v67 offset:2496
	ds_read2_b64 v[36:39], v46 offset0:106 offset1:145
	ds_read2_b64 v[40:43], v67 offset1:39
	s_waitcnt lgkmcnt(0)
	s_barrier
	buffer_gl0_inv
	v_mul_f32_e32 v47, v5, v3
	v_mul_f32_e32 v5, v5, v2
	;; [unrolled: 1-line block ×5, first 2 shown]
	v_fmac_f32_e32 v47, v4, v2
	v_fma_f32 v3, v4, v3, -v5
	v_mul_f32_e32 v5, v7, v37
	v_mul_f32_e32 v2, v7, v36
	;; [unrolled: 1-line block ×5, first 2 shown]
	v_fmac_f32_e32 v5, v6, v36
	v_fma_f32 v6, v6, v37, -v2
	v_fmac_f32_e32 v49, v8, v32
	v_fma_f32 v9, v8, v33, -v9
	v_mul_f32_e32 v32, v11, v39
	v_mul_f32_e32 v4, v11, v38
	v_add_f32_e32 v2, v40, v47
	v_add_f32_e32 v8, v3, v6
	v_fmac_f32_e32 v50, v12, v34
	v_fma_f32 v12, v12, v35, -v13
	v_fmac_f32_e32 v51, v14, v44
	v_fma_f32 v13, v14, v45, -v15
	v_fmac_f32_e32 v32, v10, v38
	v_fma_f32 v11, v10, v39, -v4
	v_add_f32_e32 v4, v47, v5
	v_add_f32_e32 v7, v41, v3
	v_add_f32_e32 v2, v2, v5
	v_sub_f32_e32 v14, v47, v5
	v_fma_f32 v5, -0.5, v8, v41
	v_sub_f32_e32 v10, v3, v6
	v_fma_f32 v4, -0.5, v4, v40
	v_add_f32_e32 v3, v7, v6
	v_add_f32_e32 v8, v49, v32
	v_fmamk_f32 v7, v14, 0x3f5db3d7, v5
	v_fmac_f32_e32 v5, 0xbf5db3d7, v14
	v_add_f32_e32 v14, v9, v11
	v_fmamk_f32 v6, v10, 0xbf5db3d7, v4
	v_fmac_f32_e32 v4, 0x3f5db3d7, v10
	v_add_f32_e32 v10, v42, v49
	v_fma_f32 v42, -0.5, v8, v42
	v_sub_f32_e32 v15, v9, v11
	v_add_f32_e32 v9, v43, v9
	v_fmac_f32_e32 v43, -0.5, v14
	v_sub_f32_e32 v14, v49, v32
	v_add_f32_e32 v8, v10, v32
	v_fmamk_f32 v10, v15, 0xbf5db3d7, v42
	v_fmac_f32_e32 v42, 0x3f5db3d7, v15
	v_add_f32_e32 v9, v9, v11
	v_add_f32_e32 v15, v50, v51
	v_fmamk_f32 v11, v14, 0x3f5db3d7, v43
	v_fmac_f32_e32 v43, 0xbf5db3d7, v14
	v_add_f32_e32 v14, v12, v13
	v_add_f32_e32 v32, v0, v50
	v_fma_f32 v0, -0.5, v15, v0
	v_sub_f32_e32 v15, v12, v13
	v_add_f32_e32 v33, v1, v12
	v_fmac_f32_e32 v1, -0.5, v14
	v_sub_f32_e32 v34, v50, v51
	v_add_f32_e32 v12, v32, v51
	v_fmamk_f32 v14, v15, 0xbf5db3d7, v0
	v_fmac_f32_e32 v0, 0x3f5db3d7, v15
	v_add_f32_e32 v13, v33, v13
	v_fmamk_f32 v15, v34, 0x3f5db3d7, v1
	v_fmac_f32_e32 v1, 0xbf5db3d7, v34
	ds_write2_b64 v70, v[2:3], v[6:7] offset1:13
	ds_write_b64 v70, v[4:5] offset:208
	ds_write2_b64 v69, v[8:9], v[10:11] offset1:13
	ds_write_b64 v69, v[42:43] offset:208
	;; [unrolled: 2-line block ×3, first 2 shown]
	s_waitcnt lgkmcnt(0)
	s_barrier
	buffer_gl0_inv
	ds_read2_b64 v[0:3], v67 offset1:39
	ds_read2_b64 v[4:7], v67 offset0:78 offset1:117
	ds_read2_b64 v[8:11], v67 offset0:156 offset1:195
	;; [unrolled: 1-line block ×3, first 2 shown]
	ds_read_b64 v[32:33], v67 offset:2496
	s_waitcnt lgkmcnt(4)
	v_mul_f32_e32 v34, v29, v3
	s_waitcnt lgkmcnt(3)
	v_mul_f32_e32 v35, v25, v7
	v_mul_f32_e32 v25, v25, v6
	v_fmac_f32_e32 v34, v28, v2
	v_mul_f32_e32 v2, v29, v2
	v_mul_f32_e32 v29, v31, v5
	;; [unrolled: 1-line block ×3, first 2 shown]
	v_fmac_f32_e32 v35, v24, v6
	s_waitcnt lgkmcnt(2)
	v_mul_f32_e32 v6, v21, v10
	v_fma_f32 v2, v28, v3, -v2
	v_fmac_f32_e32 v29, v30, v4
	v_fma_f32 v3, v30, v5, -v31
	v_fma_f32 v4, v24, v7, -v25
	v_mul_f32_e32 v5, v27, v8
	v_mul_f32_e32 v25, v21, v11
	;; [unrolled: 1-line block ×3, first 2 shown]
	s_waitcnt lgkmcnt(1)
	v_mul_f32_e32 v7, v23, v13
	v_fma_f32 v21, v26, v9, -v5
	v_fmac_f32_e32 v25, v20, v10
	v_fma_f32 v20, v20, v11, -v6
	s_waitcnt lgkmcnt(0)
	v_mul_f32_e32 v5, v19, v33
	v_mul_f32_e32 v6, v19, v32
	;; [unrolled: 1-line block ×4, first 2 shown]
	v_fmac_f32_e32 v24, v26, v8
	v_fmac_f32_e32 v5, v18, v32
	v_fma_f32 v6, v18, v33, -v6
	v_fmac_f32_e32 v7, v22, v12
	v_mul_f32_e32 v8, v23, v12
	v_fmac_f32_e32 v9, v16, v14
	v_fma_f32 v10, v16, v15, -v10
	v_sub_f32_e32 v12, v34, v5
	v_add_f32_e32 v18, v2, v6
	v_fma_f32 v8, v22, v13, -v8
	v_sub_f32_e32 v15, v29, v9
	v_sub_f32_e32 v16, v3, v10
	v_mul_f32_e32 v11, 0x3f248dbb, v12
	v_add_f32_e32 v26, v3, v10
	v_fmamk_f32 v3, v18, 0x3f441b7d, v1
	v_sub_f32_e32 v13, v2, v6
	v_add_f32_e32 v14, v34, v5
	v_sub_f32_e32 v19, v35, v7
	v_fmac_f32_e32 v11, 0x3f7c1c5c, v15
	v_add_f32_e32 v30, v4, v8
	v_fmac_f32_e32 v3, 0x3e31d0d4, v26
	v_mul_f32_e32 v17, 0x3f248dbb, v13
	v_add_f32_e32 v23, v29, v9
	v_fmamk_f32 v2, v14, 0x3f441b7d, v0
	v_fmac_f32_e32 v11, 0x3f5db3d7, v19
	v_sub_f32_e32 v28, v24, v25
	v_sub_f32_e32 v29, v21, v20
	v_add_f32_e32 v32, v21, v20
	v_fmac_f32_e32 v3, -0.5, v30
	v_sub_f32_e32 v22, v4, v8
	v_fmac_f32_e32 v17, 0x3f7c1c5c, v16
	v_add_f32_e32 v27, v35, v7
	v_fmac_f32_e32 v2, 0x3e31d0d4, v23
	v_fmac_f32_e32 v11, 0x3eaf1d44, v28
	v_mul_f32_e32 v9, 0xbf248dbb, v28
	v_mul_f32_e32 v8, 0xbf248dbb, v29
	v_fmac_f32_e32 v3, 0xbf708fb2, v32
	v_fmac_f32_e32 v17, 0x3f5db3d7, v22
	v_add_f32_e32 v31, v24, v25
	v_fmac_f32_e32 v2, -0.5, v27
	v_fmac_f32_e32 v9, 0x3f7c1c5c, v12
	v_fmac_f32_e32 v8, 0x3f7c1c5c, v13
	v_add_f32_e32 v3, v11, v3
	v_fmac_f32_e32 v17, 0x3eaf1d44, v29
	v_fmac_f32_e32 v2, 0xbf708fb2, v31
	;; [unrolled: 1-line block ×4, first 2 shown]
	v_fma_f32 v7, -2.0, v11, v3
	v_add_f32_e32 v10, v28, v12
	v_add_f32_e32 v11, v29, v13
	v_mul_f32_e32 v28, 0x3f7c1c5c, v28
	v_mul_f32_e32 v29, 0x3f7c1c5c, v29
	v_sub_f32_e32 v2, v2, v17
	v_fmac_f32_e32 v9, 0x3eaf1d44, v15
	v_fmac_f32_e32 v8, 0x3eaf1d44, v16
	v_sub_f32_e32 v33, v10, v15
	v_sub_f32_e32 v36, v11, v16
	v_fma_f32 v28, 0xbf248dbb, v15, -v28
	v_fma_f32 v29, 0xbf248dbb, v16, -v29
	v_fmamk_f32 v15, v23, 0x3f441b7d, v0
	v_fmamk_f32 v16, v26, 0x3f441b7d, v1
	;; [unrolled: 1-line block ×4, first 2 shown]
	v_fma_f32 v6, 2.0, v17, v2
	v_add_f32_e32 v17, v23, v14
	v_add_f32_e32 v34, v26, v18
	v_fmac_f32_e32 v15, 0x3e31d0d4, v31
	v_fmac_f32_e32 v16, 0x3e31d0d4, v32
	;; [unrolled: 1-line block ×4, first 2 shown]
	v_add_f32_e32 v35, v31, v17
	v_fmac_f32_e32 v28, 0x3f5db3d7, v19
	v_add_f32_e32 v17, v27, v17
	v_add_f32_e32 v19, v30, v34
	;; [unrolled: 1-line block ×5, first 2 shown]
	v_fmac_f32_e32 v29, 0x3f5db3d7, v22
	v_fmac_f32_e32 v15, -0.5, v27
	v_fmac_f32_e32 v16, -0.5, v30
	;; [unrolled: 1-line block ×4, first 2 shown]
	v_fmac_f32_e32 v28, 0x3eaf1d44, v12
	v_add_f32_e32 v12, v24, v17
	v_add_f32_e32 v17, v21, v19
	v_fmac_f32_e32 v10, -0.5, v35
	v_fmac_f32_e32 v11, -0.5, v38
	v_fmac_f32_e32 v29, 0x3eaf1d44, v13
	v_fmac_f32_e32 v15, 0xbf708fb2, v14
	;; [unrolled: 1-line block ×5, first 2 shown]
	v_add_f32_e32 v13, v25, v12
	v_add_f32_e32 v17, v20, v17
	v_mul_f32_e32 v37, 0x3f5db3d7, v33
	v_mul_f32_e32 v35, 0x3f5db3d7, v36
	v_fmac_f32_e32 v10, 0xbf5db3d7, v36
	v_fmac_f32_e32 v11, 0x3f5db3d7, v33
	v_sub_f32_e32 v14, v15, v29
	v_add_f32_e32 v15, v28, v16
	v_sub_f32_e32 v4, v4, v8
	v_add_f32_e32 v5, v9, v5
	v_add_f32_e32 v16, v13, v0
	;; [unrolled: 1-line block ×3, first 2 shown]
	v_add_nc_u32_e32 v0, 0x800, v65
	v_fma_f32 v12, 2.0, v35, v10
	v_fma_f32 v13, -2.0, v37, v11
	v_fma_f32 v18, 2.0, v29, v14
	v_fma_f32 v19, -2.0, v28, v15
	;; [unrolled: 2-line block ×3, first 2 shown]
	ds_write_b64 v66, v[16:17]
	ds_write2_b64 v65, v[2:3], v[4:5] offset0:39 offset1:78
	ds_write2_b64 v65, v[10:11], v[14:15] offset0:117 offset1:156
	;; [unrolled: 1-line block ×4, first 2 shown]
	s_waitcnt lgkmcnt(0)
	s_barrier
	buffer_gl0_inv
	s_and_b32 exec_lo, exec_lo, vcc_lo
	s_cbranch_execz .LBB0_15
; %bb.14:
	v_add_co_u32 v1, s0, s14, v62
	s_clause 0x9
	global_load_dwordx2 v[25:26], v62, s[14:15]
	global_load_dwordx2 v[27:28], v62, s[14:15] offset:216
	global_load_dwordx2 v[29:30], v62, s[14:15] offset:432
	;; [unrolled: 1-line block ×9, first 2 shown]
	v_add_co_ci_u32_e64 v2, null, s15, 0, s0
	v_add_co_u32 v45, vcc_lo, 0x800, v1
	v_mad_u64_u32 v[3:4], null, s4, v61, 0
	v_add_co_ci_u32_e32 v46, vcc_lo, 0, v2, vcc_lo
	v_mad_u64_u32 v[1:2], null, s6, v48, 0
	s_clause 0x1
	global_load_dwordx2 v[49:50], v[45:46], off offset:112
	global_load_dwordx2 v[51:52], v[45:46], off offset:328
	ds_read2_b64 v[13:16], v65 offset0:189 offset1:216
	v_add_nc_u32_e32 v21, 0x400, v65
	ds_read2_b64 v[9:12], v65 offset0:135 offset1:162
	ds_read2_b64 v[17:20], v0 offset0:41 offset1:68
	v_mad_u64_u32 v[5:6], null, s7, v48, v[2:3]
	ds_read_b64 v[47:48], v66
	ds_read2_b64 v[21:24], v21 offset0:115 offset1:142
	s_mul_i32 s0, s5, 0xd8
	s_mul_hi_u32 s1, s4, 0xd8
	s_mul_i32 s2, s4, 0xd8
	s_add_i32 s3, s1, s0
	v_mad_u64_u32 v[6:7], null, s5, v61, v[4:5]
	v_mov_b32_e32 v2, v5
	s_mov_b32 s0, 0xc201756d
	s_mov_b32 s1, 0x3f6756ca
	v_lshlrev_b64 v[1:2], 3, v[1:2]
	v_mov_b32_e32 v4, v6
	ds_read2_b64 v[5:8], v65 offset0:81 offset1:108
	v_lshlrev_b64 v[3:4], 3, v[3:4]
	v_add_co_u32 v1, vcc_lo, s12, v1
	v_add_co_ci_u32_e32 v2, vcc_lo, s13, v2, vcc_lo
	v_add_co_u32 v53, vcc_lo, v1, v3
	v_add_co_ci_u32_e32 v54, vcc_lo, v2, v4, vcc_lo
	ds_read2_b64 v[1:4], v65 offset0:27 offset1:54
	v_add_co_u32 v55, vcc_lo, v53, s2
	v_add_co_ci_u32_e32 v56, vcc_lo, s3, v54, vcc_lo
	v_add_co_u32 v57, vcc_lo, v55, s2
	v_add_co_ci_u32_e32 v58, vcc_lo, s3, v56, vcc_lo
	;; [unrolled: 2-line block ×9, first 2 shown]
	s_waitcnt vmcnt(11) lgkmcnt(3)
	v_mul_f32_e32 v0, v48, v26
	v_mul_f32_e32 v26, v47, v26
	s_waitcnt vmcnt(10) lgkmcnt(0)
	v_mul_f32_e32 v65, v2, v28
	v_mul_f32_e32 v28, v1, v28
	s_waitcnt vmcnt(9)
	v_mul_f32_e32 v74, v4, v30
	v_mul_f32_e32 v30, v3, v30
	s_waitcnt vmcnt(8)
	;; [unrolled: 3-line block ×3, first 2 shown]
	v_mul_f32_e32 v80, v16, v42
	v_mul_f32_e32 v42, v15, v42
	;; [unrolled: 1-line block ×6, first 2 shown]
	v_fmac_f32_e32 v0, v47, v25
	v_fma_f32 v25, v25, v48, -v26
	v_fma_f32 v16, v41, v16, -v42
	v_mul_f32_e32 v78, v12, v38
	v_mul_f32_e32 v38, v11, v38
	v_fmac_f32_e32 v65, v1, v27
	v_fma_f32 v26, v27, v2, -v28
	v_mul_f32_e32 v79, v14, v40
	v_mul_f32_e32 v40, v13, v40
	v_fmac_f32_e32 v74, v3, v29
	v_fma_f32 v27, v29, v4, -v30
	v_fmac_f32_e32 v75, v5, v31
	v_fma_f32 v28, v31, v6, -v32
	s_waitcnt vmcnt(2)
	v_mul_f32_e32 v81, v22, v44
	v_mul_f32_e32 v44, v21, v44
	v_fmac_f32_e32 v76, v7, v33
	v_fma_f32 v29, v33, v8, -v34
	v_fmac_f32_e32 v77, v9, v35
	v_fma_f32 v30, v35, v10, -v36
	v_fmac_f32_e32 v80, v15, v41
	v_cvt_f64_f32_e32 v[0:1], v0
	v_cvt_f64_f32_e32 v[2:3], v25
	;; [unrolled: 1-line block ×3, first 2 shown]
	s_waitcnt vmcnt(1)
	v_mul_f32_e32 v48, v24, v50
	v_mul_f32_e32 v16, v23, v50
	v_fmac_f32_e32 v78, v11, v37
	v_fma_f32 v33, v37, v12, -v38
	v_cvt_f64_f32_e32 v[4:5], v65
	v_cvt_f64_f32_e32 v[6:7], v26
	s_waitcnt vmcnt(0)
	v_mul_f32_e32 v50, v18, v52
	v_mul_f32_e32 v52, v17, v52
	v_fmac_f32_e32 v79, v13, v39
	v_fma_f32 v37, v39, v14, -v40
	v_cvt_f64_f32_e32 v[8:9], v74
	v_cvt_f64_f32_e32 v[10:11], v27
	;; [unrolled: 1-line block ×4, first 2 shown]
	v_fmac_f32_e32 v81, v21, v43
	v_fma_f32 v47, v43, v22, -v44
	v_cvt_f64_f32_e32 v[21:22], v76
	v_cvt_f64_f32_e32 v[25:26], v29
	v_cvt_f64_f32_e32 v[27:28], v77
	v_cvt_f64_f32_e32 v[29:30], v30
	v_fmac_f32_e32 v48, v23, v49
	v_fma_f32 v49, v49, v24, -v16
	v_cvt_f64_f32_e32 v[31:32], v78
	v_cvt_f64_f32_e32 v[33:34], v33
	v_fmac_f32_e32 v50, v17, v51
	v_fma_f32 v18, v51, v18, -v52
	v_cvt_f64_f32_e32 v[35:36], v79
	v_cvt_f64_f32_e32 v[37:38], v37
	;; [unrolled: 1-line block ×9, first 2 shown]
	v_mul_f64 v[0:1], v[0:1], s[0:1]
	v_mul_f64 v[2:3], v[2:3], s[0:1]
	;; [unrolled: 1-line block ×24, first 2 shown]
	v_cvt_f32_f64_e32 v0, v[0:1]
	v_cvt_f32_f64_e32 v1, v[2:3]
	;; [unrolled: 1-line block ×24, first 2 shown]
	v_add_co_u32 v27, vcc_lo, v72, s2
	v_add_co_ci_u32_e32 v28, vcc_lo, s3, v73, vcc_lo
	v_add_co_u32 v29, vcc_lo, v27, s2
	v_add_co_ci_u32_e32 v30, vcc_lo, s3, v28, vcc_lo
	global_store_dwordx2 v[53:54], v[0:1], off
	global_store_dwordx2 v[55:56], v[2:3], off
	;; [unrolled: 1-line block ×12, first 2 shown]
	global_load_dwordx2 v[0:1], v[45:46], off offset:544
	s_waitcnt vmcnt(0)
	v_mul_f32_e32 v2, v20, v1
	v_mul_f32_e32 v1, v19, v1
	v_fmac_f32_e32 v2, v19, v0
	v_fma_f32 v3, v0, v20, -v1
	v_cvt_f64_f32_e32 v[0:1], v2
	v_cvt_f64_f32_e32 v[2:3], v3
	v_mul_f64 v[0:1], v[0:1], s[0:1]
	v_mul_f64 v[2:3], v[2:3], s[0:1]
	v_cvt_f32_f64_e32 v0, v[0:1]
	v_cvt_f32_f64_e32 v1, v[2:3]
	v_add_co_u32 v2, vcc_lo, v29, s2
	v_add_co_ci_u32_e32 v3, vcc_lo, s3, v30, vcc_lo
	global_store_dwordx2 v[2:3], v[0:1], off
.LBB0_15:
	s_endpgm
	.section	.rodata,"a",@progbits
	.p2align	6, 0x0
	.amdhsa_kernel bluestein_single_fwd_len351_dim1_sp_op_CI_CI
		.amdhsa_group_segment_fixed_size 8424
		.amdhsa_private_segment_fixed_size 0
		.amdhsa_kernarg_size 104
		.amdhsa_user_sgpr_count 6
		.amdhsa_user_sgpr_private_segment_buffer 1
		.amdhsa_user_sgpr_dispatch_ptr 0
		.amdhsa_user_sgpr_queue_ptr 0
		.amdhsa_user_sgpr_kernarg_segment_ptr 1
		.amdhsa_user_sgpr_dispatch_id 0
		.amdhsa_user_sgpr_flat_scratch_init 0
		.amdhsa_user_sgpr_private_segment_size 0
		.amdhsa_wavefront_size32 1
		.amdhsa_uses_dynamic_stack 0
		.amdhsa_system_sgpr_private_segment_wavefront_offset 0
		.amdhsa_system_sgpr_workgroup_id_x 1
		.amdhsa_system_sgpr_workgroup_id_y 0
		.amdhsa_system_sgpr_workgroup_id_z 0
		.amdhsa_system_sgpr_workgroup_info 0
		.amdhsa_system_vgpr_workitem_id 0
		.amdhsa_next_free_vgpr 162
		.amdhsa_next_free_sgpr 16
		.amdhsa_reserve_vcc 1
		.amdhsa_reserve_flat_scratch 0
		.amdhsa_float_round_mode_32 0
		.amdhsa_float_round_mode_16_64 0
		.amdhsa_float_denorm_mode_32 3
		.amdhsa_float_denorm_mode_16_64 3
		.amdhsa_dx10_clamp 1
		.amdhsa_ieee_mode 1
		.amdhsa_fp16_overflow 0
		.amdhsa_workgroup_processor_mode 1
		.amdhsa_memory_ordered 1
		.amdhsa_forward_progress 0
		.amdhsa_shared_vgpr_count 0
		.amdhsa_exception_fp_ieee_invalid_op 0
		.amdhsa_exception_fp_denorm_src 0
		.amdhsa_exception_fp_ieee_div_zero 0
		.amdhsa_exception_fp_ieee_overflow 0
		.amdhsa_exception_fp_ieee_underflow 0
		.amdhsa_exception_fp_ieee_inexact 0
		.amdhsa_exception_int_div_zero 0
	.end_amdhsa_kernel
	.text
.Lfunc_end0:
	.size	bluestein_single_fwd_len351_dim1_sp_op_CI_CI, .Lfunc_end0-bluestein_single_fwd_len351_dim1_sp_op_CI_CI
                                        ; -- End function
	.section	.AMDGPU.csdata,"",@progbits
; Kernel info:
; codeLenInByte = 12232
; NumSgprs: 18
; NumVgprs: 162
; ScratchSize: 0
; MemoryBound: 0
; FloatMode: 240
; IeeeMode: 1
; LDSByteSize: 8424 bytes/workgroup (compile time only)
; SGPRBlocks: 2
; VGPRBlocks: 20
; NumSGPRsForWavesPerEU: 18
; NumVGPRsForWavesPerEU: 162
; Occupancy: 5
; WaveLimiterHint : 1
; COMPUTE_PGM_RSRC2:SCRATCH_EN: 0
; COMPUTE_PGM_RSRC2:USER_SGPR: 6
; COMPUTE_PGM_RSRC2:TRAP_HANDLER: 0
; COMPUTE_PGM_RSRC2:TGID_X_EN: 1
; COMPUTE_PGM_RSRC2:TGID_Y_EN: 0
; COMPUTE_PGM_RSRC2:TGID_Z_EN: 0
; COMPUTE_PGM_RSRC2:TIDIG_COMP_CNT: 0
	.text
	.p2alignl 6, 3214868480
	.fill 48, 4, 3214868480
	.type	__hip_cuid_add885381a37d4f9,@object ; @__hip_cuid_add885381a37d4f9
	.section	.bss,"aw",@nobits
	.globl	__hip_cuid_add885381a37d4f9
__hip_cuid_add885381a37d4f9:
	.byte	0                               ; 0x0
	.size	__hip_cuid_add885381a37d4f9, 1

	.ident	"AMD clang version 19.0.0git (https://github.com/RadeonOpenCompute/llvm-project roc-6.4.0 25133 c7fe45cf4b819c5991fe208aaa96edf142730f1d)"
	.section	".note.GNU-stack","",@progbits
	.addrsig
	.addrsig_sym __hip_cuid_add885381a37d4f9
	.amdgpu_metadata
---
amdhsa.kernels:
  - .args:
      - .actual_access:  read_only
        .address_space:  global
        .offset:         0
        .size:           8
        .value_kind:     global_buffer
      - .actual_access:  read_only
        .address_space:  global
        .offset:         8
        .size:           8
        .value_kind:     global_buffer
      - .actual_access:  read_only
        .address_space:  global
        .offset:         16
        .size:           8
        .value_kind:     global_buffer
      - .actual_access:  read_only
        .address_space:  global
        .offset:         24
        .size:           8
        .value_kind:     global_buffer
      - .actual_access:  read_only
        .address_space:  global
        .offset:         32
        .size:           8
        .value_kind:     global_buffer
      - .offset:         40
        .size:           8
        .value_kind:     by_value
      - .address_space:  global
        .offset:         48
        .size:           8
        .value_kind:     global_buffer
      - .address_space:  global
        .offset:         56
        .size:           8
        .value_kind:     global_buffer
      - .address_space:  global
        .offset:         64
        .size:           8
        .value_kind:     global_buffer
      - .address_space:  global
        .offset:         72
        .size:           8
        .value_kind:     global_buffer
      - .offset:         80
        .size:           4
        .value_kind:     by_value
      - .address_space:  global
        .offset:         88
        .size:           8
        .value_kind:     global_buffer
      - .address_space:  global
        .offset:         96
        .size:           8
        .value_kind:     global_buffer
    .group_segment_fixed_size: 8424
    .kernarg_segment_align: 8
    .kernarg_segment_size: 104
    .language:       OpenCL C
    .language_version:
      - 2
      - 0
    .max_flat_workgroup_size: 117
    .name:           bluestein_single_fwd_len351_dim1_sp_op_CI_CI
    .private_segment_fixed_size: 0
    .sgpr_count:     18
    .sgpr_spill_count: 0
    .symbol:         bluestein_single_fwd_len351_dim1_sp_op_CI_CI.kd
    .uniform_work_group_size: 1
    .uses_dynamic_stack: false
    .vgpr_count:     162
    .vgpr_spill_count: 0
    .wavefront_size: 32
    .workgroup_processor_mode: 1
amdhsa.target:   amdgcn-amd-amdhsa--gfx1030
amdhsa.version:
  - 1
  - 2
...

	.end_amdgpu_metadata
